;; amdgpu-corpus repo=ROCm/rocFFT kind=compiled arch=gfx1201 opt=O3
	.text
	.amdgcn_target "amdgcn-amd-amdhsa--gfx1201"
	.amdhsa_code_object_version 6
	.protected	bluestein_single_back_len220_dim1_sp_op_CI_CI ; -- Begin function bluestein_single_back_len220_dim1_sp_op_CI_CI
	.globl	bluestein_single_back_len220_dim1_sp_op_CI_CI
	.p2align	8
	.type	bluestein_single_back_len220_dim1_sp_op_CI_CI,@function
bluestein_single_back_len220_dim1_sp_op_CI_CI: ; @bluestein_single_back_len220_dim1_sp_op_CI_CI
; %bb.0:
	s_load_b128 s[12:15], s[0:1], 0x28
	v_mul_u32_u24_e32 v1, 0xba3, v0
	s_mov_b32 s2, exec_lo
	s_delay_alu instid0(VALU_DEP_1) | instskip(NEXT) | instid1(VALU_DEP_1)
	v_lshrrev_b32_e32 v1, 16, v1
	v_mad_co_u64_u32 v[40:41], null, ttmp9, 5, v[1:2]
	v_mov_b32_e32 v41, 0
	s_wait_kmcnt 0x0
	s_delay_alu instid0(VALU_DEP_1)
	v_cmpx_gt_u64_e64 s[12:13], v[40:41]
	s_cbranch_execz .LBB0_10
; %bb.1:
	s_clause 0x1
	s_load_b128 s[4:7], s[0:1], 0x18
	s_load_b128 s[8:11], s[0:1], 0x0
	v_mul_lo_u16 v1, v1, 22
	v_mul_hi_u32 v21, 0xcccccccd, v40
	s_delay_alu instid0(VALU_DEP_2) | instskip(NEXT) | instid1(VALU_DEP_2)
	v_sub_nc_u16 v0, v0, v1
	v_lshrrev_b32_e32 v21, 2, v21
	s_delay_alu instid0(VALU_DEP_2)
	v_and_b32_e32 v75, 0xffff, v0
	v_mul_lo_u16 v22, v0, 10
	v_add_nc_u16 v25, v0, 22
	v_add_nc_u16 v26, v0, 44
	v_lshl_add_u32 v21, v21, 2, v21
	v_add_nc_u16 v27, v0, 0x42
	v_add_nc_u16 v28, v0, 0x58
	v_and_b32_e32 v23, 0xff, v0
	s_wait_kmcnt 0x0
	s_load_b128 s[16:19], s[4:5], 0x0
	v_sub_nc_u32_e32 v21, v40, v21
	s_delay_alu instid0(VALU_DEP_1) | instskip(SKIP_4) | instid1(VALU_DEP_1)
	v_mul_u32_u24_e32 v21, 0xdc, v21
	s_wait_kmcnt 0x0
	v_mad_co_u64_u32 v[1:2], null, s18, v40, 0
	v_mad_co_u64_u32 v[3:4], null, s16, v75, 0
	s_mul_u64 s[2:3], s[16:17], 0xb0
	v_mad_co_u64_u32 v[5:6], null, s19, v40, v[2:3]
	s_delay_alu instid0(VALU_DEP_1) | instskip(NEXT) | instid1(VALU_DEP_3)
	v_mov_b32_e32 v2, v5
	v_mad_co_u64_u32 v[6:7], null, s17, v75, v[4:5]
	v_lshlrev_b32_e32 v78, 3, v75
	s_clause 0x3
	global_load_b64 v[45:46], v78, s[8:9]
	global_load_b64 v[47:48], v78, s[8:9] offset:176
	global_load_b64 v[51:52], v78, s[8:9] offset:352
	;; [unrolled: 1-line block ×3, first 2 shown]
	v_mov_b32_e32 v4, v6
	v_lshlrev_b64_e32 v[1:2], 3, v[1:2]
	s_clause 0x3
	global_load_b64 v[59:60], v78, s[8:9] offset:704
	global_load_b64 v[43:44], v78, s[8:9] offset:880
	;; [unrolled: 1-line block ×4, first 2 shown]
	v_lshlrev_b64_e32 v[3:4], 3, v[3:4]
	v_add_co_u32 v1, vcc_lo, s14, v1
	v_add_co_ci_u32_e32 v2, vcc_lo, s15, v2, vcc_lo
	s_delay_alu instid0(VALU_DEP_2) | instskip(SKIP_1) | instid1(VALU_DEP_2)
	v_add_co_u32 v1, vcc_lo, v1, v3
	s_wait_alu 0xfffd
	v_add_co_ci_u32_e32 v2, vcc_lo, v2, v4, vcc_lo
	s_delay_alu instid0(VALU_DEP_2) | instskip(SKIP_1) | instid1(VALU_DEP_2)
	v_add_co_u32 v3, vcc_lo, v1, s2
	s_wait_alu 0xfffd
	v_add_co_ci_u32_e32 v4, vcc_lo, s3, v2, vcc_lo
	global_load_b64 v[1:2], v[1:2], off
	v_add_co_u32 v5, vcc_lo, v3, s2
	s_wait_alu 0xfffd
	v_add_co_ci_u32_e32 v6, vcc_lo, s3, v4, vcc_lo
	s_delay_alu instid0(VALU_DEP_2) | instskip(SKIP_1) | instid1(VALU_DEP_2)
	v_add_co_u32 v7, vcc_lo, v5, s2
	s_wait_alu 0xfffd
	v_add_co_ci_u32_e32 v8, vcc_lo, s3, v6, vcc_lo
	s_clause 0x1
	global_load_b64 v[3:4], v[3:4], off
	global_load_b64 v[5:6], v[5:6], off
	v_add_co_u32 v9, vcc_lo, v7, s2
	s_wait_alu 0xfffd
	v_add_co_ci_u32_e32 v10, vcc_lo, s3, v8, vcc_lo
	v_lshlrev_b32_e32 v77, 3, v21
	s_delay_alu instid0(VALU_DEP_3) | instskip(SKIP_1) | instid1(VALU_DEP_3)
	v_add_co_u32 v11, vcc_lo, v9, s2
	s_wait_alu 0xfffd
	v_add_co_ci_u32_e32 v12, vcc_lo, s3, v10, vcc_lo
	s_clause 0x1
	global_load_b64 v[7:8], v[7:8], off
	global_load_b64 v[9:10], v[9:10], off
	v_add_co_u32 v13, vcc_lo, v11, s2
	s_wait_alu 0xfffd
	v_add_co_ci_u32_e32 v14, vcc_lo, s3, v12, vcc_lo
	global_load_b64 v[11:12], v[11:12], off
	v_add_co_u32 v15, vcc_lo, v13, s2
	s_wait_alu 0xfffd
	v_add_co_ci_u32_e32 v16, vcc_lo, s3, v14, vcc_lo
	;; [unrolled: 4-line block ×4, first 2 shown]
	v_and_b32_e32 v29, 0xffff, v22
	v_mul_lo_u16 v22, 0xcd, v23
	v_and_b32_e32 v23, 0xff, v25
	v_and_b32_e32 v24, 0xff, v26
	;; [unrolled: 1-line block ×3, first 2 shown]
	v_cmp_gt_u16_e32 vcc_lo, 20, v0
	v_lshrrev_b16 v32, 11, v22
	v_mul_lo_u16 v22, 0xcd, v23
	v_mul_lo_u16 v23, 0xcd, v24
	s_load_b64 s[2:3], s[0:1], 0x38
	s_delay_alu instid0(VALU_DEP_2) | instskip(NEXT) | instid1(VALU_DEP_2)
	v_lshrrev_b16 v33, 11, v22
	v_lshrrev_b16 v34, 11, v23
	s_delay_alu instid0(VALU_DEP_2) | instskip(NEXT) | instid1(VALU_DEP_2)
	v_mul_lo_u16 v36, v33, 10
	v_mul_lo_u16 v37, v34, 10
	s_wait_loadcnt 0x7
	v_mul_f32_e32 v21, v2, v46
	global_load_b64 v[17:18], v[17:18], off
	s_clause 0x1
	global_load_b64 v[55:56], v78, s[8:9] offset:1408
	global_load_b64 v[57:58], v78, s[8:9] offset:1584
	global_load_b64 v[19:20], v[19:20], off
	v_and_b32_e32 v30, 0xff, v27
	v_mul_f32_e32 v22, v1, v46
	s_load_b128 s[4:7], s[6:7], 0x0
	v_fmac_f32_e32 v21, v1, v45
	s_delay_alu instid0(VALU_DEP_3) | instskip(NEXT) | instid1(VALU_DEP_3)
	v_mul_lo_u16 v24, 0xcd, v30
	v_fma_f32 v22, v2, v45, -v22
	s_wait_loadcnt 0xa
	v_mul_f32_e32 v23, v4, v48
	s_wait_loadcnt 0x9
	v_mul_f32_e32 v1, v6, v52
	v_mul_f32_e32 v2, v5, v52
	v_lshrrev_b16 v35, 11, v24
	v_mul_f32_e32 v24, v3, v48
	v_dual_fmac_f32 v23, v3, v47 :: v_dual_add_nc_u32 v76, v78, v77
	v_fmac_f32_e32 v1, v5, v51
	v_fma_f32 v2, v6, v51, -v2
	s_delay_alu instid0(VALU_DEP_4) | instskip(SKIP_4) | instid1(VALU_DEP_3)
	v_fma_f32 v24, v4, v47, -v24
	s_wait_loadcnt 0x7
	v_dual_mul_f32 v3, v8, v54 :: v_dual_mul_f32 v6, v9, v60
	v_dual_mul_f32 v4, v7, v54 :: v_dual_mul_f32 v5, v10, v60
	v_mul_lo_u16 v30, 0xcd, v31
	v_fmac_f32_e32 v3, v7, v53
	s_wait_loadcnt 0x6
	v_mul_f32_e32 v7, v12, v44
	v_fma_f32 v4, v8, v53, -v4
	v_mul_f32_e32 v8, v11, v44
	v_fma_f32 v6, v10, v59, -v6
	v_lshrrev_b16 v30, 11, v30
	s_wait_loadcnt 0x5
	v_dual_mul_f32 v10, v13, v50 :: v_dual_fmac_f32 v7, v11, v43
	v_fma_f32 v8, v12, v43, -v8
	v_mul_lo_u16 v38, v35, 10
	v_mul_lo_u16 v39, v30, 10
	s_wait_loadcnt 0x4
	v_mul_f32_e32 v11, v16, v42
	v_dual_mul_f32 v12, v15, v42 :: v_dual_fmac_f32 v5, v9, v59
	v_mul_f32_e32 v9, v14, v50
	v_fma_f32 v10, v14, v49, -v10
	s_delay_alu instid0(VALU_DEP_4) | instskip(NEXT) | instid1(VALU_DEP_4)
	v_fmac_f32_e32 v11, v15, v41
	v_fma_f32 v12, v16, v41, -v12
	v_lshl_add_u32 v79, v29, 3, v77
	v_fmac_f32_e32 v9, v13, v49
	v_mul_lo_u16 v31, v32, 10
	s_delay_alu instid0(VALU_DEP_1)
	v_sub_nc_u16 v31, v0, v31
	s_wait_loadcnt 0x2
	v_dual_mul_f32 v13, v18, v56 :: v_dual_and_b32 v0, 0xffff, v34
	s_wait_loadcnt 0x0
	v_dual_mul_f32 v14, v17, v56 :: v_dual_mul_f32 v15, v20, v58
	v_mul_f32_e32 v61, v19, v58
	s_delay_alu instid0(VALU_DEP_3) | instskip(NEXT) | instid1(VALU_DEP_3)
	v_fmac_f32_e32 v13, v17, v55
	v_fma_f32 v14, v18, v55, -v14
	s_delay_alu instid0(VALU_DEP_4) | instskip(NEXT) | instid1(VALU_DEP_4)
	v_fmac_f32_e32 v15, v19, v57
	v_fma_f32 v16, v20, v57, -v61
	ds_store_2addr_b64 v76, v[21:22], v[23:24] offset1:22
	ds_store_2addr_b64 v76, v[1:2], v[3:4] offset0:44 offset1:66
	ds_store_2addr_b64 v76, v[5:6], v[7:8] offset0:88 offset1:110
	;; [unrolled: 1-line block ×4, first 2 shown]
	global_wb scope:SCOPE_SE
	s_wait_dscnt 0x0
	s_wait_kmcnt 0x0
	s_barrier_signal -1
	s_barrier_wait -1
	global_inv scope:SCOPE_SE
	ds_load_2addr_b64 v[1:4], v76 offset1:22
	ds_load_2addr_b64 v[5:8], v76 offset0:44 offset1:66
	ds_load_2addr_b64 v[9:12], v76 offset0:88 offset1:110
	;; [unrolled: 1-line block ×4, first 2 shown]
	v_sub_nc_u16 v21, v25, v36
	v_sub_nc_u16 v25, v28, v39
	;; [unrolled: 1-line block ×4, first 2 shown]
	v_and_b32_e32 v23, 0xff, v31
	v_and_b32_e32 v26, 0xff, v21
	v_and_b32_e32 v25, 0xff, v25
	v_and_b32_e32 v24, 0xff, v24
	v_and_b32_e32 v22, 0xff, v22
	global_wb scope:SCOPE_SE
	s_wait_dscnt 0x0
	v_lshlrev_b32_e32 v26, 3, v26
	s_barrier_signal -1
	s_barrier_wait -1
	v_lshlrev_b32_e32 v27, 3, v22
	global_inv scope:SCOPE_SE
	v_add_f32_e32 v28, v1, v5
	v_dual_sub_f32 v80, v7, v11 :: v_dual_add_f32 v29, v9, v13
	v_add_f32_e32 v82, v7, v19
	v_sub_f32_e32 v36, v6, v18
	v_sub_f32_e32 v38, v5, v9
	;; [unrolled: 1-line block ×3, first 2 shown]
	v_add_f32_e32 v64, v2, v6
	v_sub_f32_e32 v66, v9, v13
	v_add_f32_e32 v9, v28, v9
	v_fma_f32 v28, -0.5, v29, v1
	v_dual_sub_f32 v37, v10, v14 :: v_dual_sub_f32 v84, v15, v19
	v_dual_sub_f32 v39, v17, v13 :: v_dual_sub_f32 v86, v8, v12
	v_dual_sub_f32 v63, v13, v17 :: v_dual_add_f32 v88, v12, v16
	v_dual_add_f32 v65, v10, v14 :: v_dual_sub_f32 v90, v20, v16
	v_add_f32_e32 v71, v3, v7
	v_sub_f32_e32 v67, v6, v10
	v_sub_f32_e32 v83, v11, v7
	v_add_f32_e32 v9, v9, v13
	v_fmamk_f32 v13, v36, 0x3f737871, v28
	v_dual_fmac_f32 v28, 0xbf737871, v36 :: v_dual_add_f32 v69, v6, v18
	v_sub_f32_e32 v6, v10, v6
	v_add_f32_e32 v10, v64, v10
	v_dual_add_f32 v64, v83, v84 :: v_dual_add_f32 v61, v5, v17
	v_add_f32_e32 v87, v8, v20
	v_dual_sub_f32 v5, v5, v17 :: v_dual_add_f32 v38, v38, v39
	s_delay_alu instid0(VALU_DEP_4)
	v_dual_add_f32 v10, v10, v14 :: v_dual_add_f32 v85, v4, v8
	v_dual_sub_f32 v70, v14, v18 :: v_dual_lshlrev_b32 v23, 3, v23
	v_sub_f32_e32 v74, v12, v16
	v_sub_f32_e32 v73, v8, v20
	;; [unrolled: 1-line block ×3, first 2 shown]
	v_fma_f32 v29, -0.5, v61, v1
	v_fma_f32 v39, -0.5, v65, v2
	;; [unrolled: 1-line block ×3, first 2 shown]
	v_fmac_f32_e32 v4, -0.5, v87
	v_dual_sub_f32 v81, v19, v15 :: v_dual_add_f32 v12, v85, v12
	v_add_f32_e32 v1, v62, v63
	v_fma_f32 v62, -0.5, v69, v2
	v_dual_add_f32 v72, v11, v15 :: v_dual_sub_f32 v91, v16, v20
	v_dual_sub_f32 v89, v11, v15 :: v_dual_add_f32 v2, v6, v70
	s_delay_alu instid0(VALU_DEP_3)
	v_fmamk_f32 v69, v66, 0x3f737871, v62
	v_fmac_f32_e32 v62, 0xbf737871, v66
	v_add_f32_e32 v6, v71, v11
	v_fma_f32 v11, -0.5, v72, v3
	v_fma_f32 v3, -0.5, v82, v3
	v_sub_f32_e32 v68, v18, v14
	v_dual_fmac_f32 v62, 0x3f167918, v5 :: v_dual_sub_f32 v7, v7, v19
	s_delay_alu instid0(VALU_DEP_3) | instskip(SKIP_1) | instid1(VALU_DEP_3)
	v_dual_add_f32 v63, v80, v81 :: v_dual_fmamk_f32 v70, v74, 0xbf737871, v3
	v_fmamk_f32 v14, v5, 0xbf737871, v39
	v_fmac_f32_e32 v62, 0x3e9e377a, v2
	v_fmamk_f32 v71, v89, 0x3f737871, v4
	v_dual_add_f32 v61, v67, v68 :: v_dual_add_f32 v8, v8, v91
	v_fmamk_f32 v68, v37, 0xbf737871, v29
	v_add_f32_e32 v6, v6, v15
	s_delay_alu instid0(VALU_DEP_4) | instskip(SKIP_2) | instid1(VALU_DEP_3)
	v_dual_fmac_f32 v71, 0xbf167918, v7 :: v_dual_add_f32 v12, v12, v16
	v_fmac_f32_e32 v4, 0xbf737871, v89
	v_dual_fmac_f32 v29, 0x3f737871, v37 :: v_dual_add_f32 v10, v10, v18
	v_fmac_f32_e32 v71, 0x3e9e377a, v8
	v_fmac_f32_e32 v39, 0x3f737871, v5
	v_dual_fmac_f32 v68, 0x3f167918, v36 :: v_dual_add_f32 v9, v9, v17
	v_fmac_f32_e32 v14, 0xbf167918, v66
	s_delay_alu instid0(VALU_DEP_4)
	v_mul_f32_e32 v18, 0x3f737871, v71
	v_fmac_f32_e32 v69, 0xbf167918, v5
	v_add_f32_e32 v5, v6, v19
	v_dual_fmac_f32 v13, 0x3f167918, v37 :: v_dual_fmac_f32 v4, 0x3f167918, v7
	v_dual_add_f32 v6, v12, v20 :: v_dual_fmamk_f32 v15, v73, 0x3f737871, v11
	v_dual_fmac_f32 v70, 0x3f167918, v73 :: v_dual_add_f32 v67, v86, v90
	v_fmamk_f32 v16, v7, 0xbf737871, v65
	s_delay_alu instid0(VALU_DEP_4) | instskip(NEXT) | instid1(VALU_DEP_4)
	v_fmac_f32_e32 v4, 0x3e9e377a, v8
	v_sub_f32_e32 v8, v10, v6
	v_fmac_f32_e32 v15, 0x3f167918, v74
	v_fmac_f32_e32 v70, 0x3e9e377a, v64
	;; [unrolled: 1-line block ×3, first 2 shown]
	v_dual_fmac_f32 v28, 0xbf167918, v37 :: v_dual_fmac_f32 v29, 0xbf167918, v36
	s_delay_alu instid0(VALU_DEP_4)
	v_fmac_f32_e32 v15, 0x3e9e377a, v63
	v_fmac_f32_e32 v16, 0xbf167918, v89
	v_mul_f32_e32 v36, 0xbf737871, v70
	v_fmac_f32_e32 v11, 0xbf167918, v74
	v_dual_fmac_f32 v13, 0x3e9e377a, v38 :: v_dual_fmac_f32 v68, 0x3e9e377a, v1
	v_mul_f32_e32 v20, 0xbf167918, v15
	v_dual_fmac_f32 v14, 0x3e9e377a, v61 :: v_dual_fmac_f32 v69, 0x3e9e377a, v2
	v_add_f32_e32 v2, v10, v6
	v_fmac_f32_e32 v39, 0x3f167918, v66
	v_fmac_f32_e32 v16, 0x3e9e377a, v67
	v_dual_fmac_f32 v28, 0x3e9e377a, v38 :: v_dual_fmac_f32 v29, 0x3e9e377a, v1
	v_dual_fmac_f32 v11, 0x3e9e377a, v63 :: v_dual_fmac_f32 v18, 0x3e9e377a, v70
	s_delay_alu instid0(VALU_DEP_4) | instskip(NEXT) | instid1(VALU_DEP_4)
	v_fmac_f32_e32 v39, 0x3e9e377a, v61
	v_dual_add_f32 v1, v9, v5 :: v_dual_fmac_f32 v20, 0x3f4f1bbd, v16
	v_fmac_f32_e32 v3, 0x3f737871, v74
	v_fmac_f32_e32 v36, 0x3e9e377a, v71
	;; [unrolled: 1-line block ×3, first 2 shown]
	v_sub_f32_e32 v7, v9, v5
	v_mul_f32_e32 v17, 0x3f4f1bbd, v15
	v_fmac_f32_e32 v3, 0xbf167918, v73
	v_mul_f32_e32 v9, 0x3e9e377a, v4
	v_fmac_f32_e32 v65, 0x3f167918, v89
	v_sub_f32_e32 v15, v68, v18
	v_fmac_f32_e32 v17, 0x3f167918, v16
	v_fmac_f32_e32 v3, 0x3e9e377a, v64
	v_sub_f32_e32 v16, v69, v36
	v_mul_f32_e32 v6, 0x3f4f1bbd, v11
	v_add_co_u32 v73, s0, s8, v78
	s_delay_alu instid0(VALU_DEP_4) | instskip(SKIP_3) | instid1(VALU_DEP_4)
	v_fma_f32 v38, 0xbf737871, v3, -v9
	v_fmac_f32_e32 v65, 0x3e9e377a, v67
	v_mul_f32_e32 v5, 0x3e9e377a, v3
	v_add_f32_e32 v9, v68, v18
	v_dual_add_f32 v3, v13, v17 :: v_dual_sub_f32 v18, v62, v38
	s_delay_alu instid0(VALU_DEP_4) | instskip(NEXT) | instid1(VALU_DEP_4)
	v_mul_f32_e32 v10, 0x3f4f1bbd, v65
	v_fma_f32 v19, 0x3f737871, v4, -v5
	v_fma_f32 v37, 0x3f167918, v65, -v6
	v_add_f32_e32 v4, v14, v20
	v_add_f32_e32 v12, v62, v38
	v_fma_f32 v61, 0xbf167918, v11, -v10
	v_add_f32_e32 v11, v29, v19
	v_dual_add_f32 v10, v69, v36 :: v_dual_add_f32 v5, v28, v37
	v_sub_f32_e32 v13, v13, v17
	s_delay_alu instid0(VALU_DEP_4)
	v_add_f32_e32 v6, v39, v61
	v_dual_sub_f32 v14, v14, v20 :: v_dual_sub_f32 v17, v29, v19
	v_sub_f32_e32 v19, v28, v37
	v_sub_f32_e32 v20, v39, v61
	ds_store_b128 v79, v[1:4]
	ds_store_b128 v79, v[9:12] offset:16
	ds_store_b128 v79, v[5:8] offset:32
	;; [unrolled: 1-line block ×4, first 2 shown]
	global_wb scope:SCOPE_SE
	s_wait_dscnt 0x0
	s_barrier_signal -1
	s_barrier_wait -1
	global_inv scope:SCOPE_SE
	s_clause 0x1
	global_load_b64 v[65:66], v23, s[10:11]
	global_load_b64 v[67:68], v26, s[10:11]
	v_lshlrev_b32_e32 v1, 3, v24
	v_lshlrev_b32_e32 v2, 3, v25
	s_clause 0x2
	global_load_b64 v[69:70], v27, s[10:11]
	global_load_b64 v[63:64], v1, s[10:11]
	;; [unrolled: 1-line block ×3, first 2 shown]
	v_and_b32_e32 v4, 0xffff, v30
	v_mad_u16 v8, v32, 20, v31
	v_mul_u32_u24_e32 v9, 20, v0
	v_mad_u16 v10, v33, 20, v21
	s_wait_alu 0xf1ff
	v_add_co_ci_u32_e64 v74, null, s9, 0, s0
	v_mul_u32_u24_e32 v13, 20, v4
	ds_load_2addr_b64 v[4:7], v76 offset0:132 offset1:154
	v_and_b32_e32 v1, 0xffff, v35
	v_and_b32_e32 v14, 0xff, v8
	v_and_b32_e32 v15, 0xff, v10
	v_add_nc_u32_e32 v16, v9, v22
	ds_load_2addr_b64 v[8:11], v76 offset0:176 offset1:198
	v_mul_u32_u24_e32 v12, 20, v1
	ds_load_2addr_b64 v[0:3], v76 offset0:88 offset1:110
	v_lshl_add_u32 v84, v14, 3, v77
	v_lshl_add_u32 v82, v16, 3, v77
                                        ; implicit-def: $vgpr71
	v_add_nc_u32_e32 v12, v12, v24
	s_delay_alu instid0(VALU_DEP_1)
	v_lshl_add_u32 v81, v12, 3, v77
	s_wait_loadcnt_dscnt 0x400
	v_mul_f32_e32 v20, v3, v66
	s_wait_loadcnt 0x3
	v_mul_f32_e32 v22, v5, v68
	v_mul_f32_e32 v24, v4, v68
	s_wait_loadcnt 0x1
	v_dual_mul_f32 v28, v8, v64 :: v_dual_mul_f32 v21, v2, v66
	v_fma_f32 v2, v2, v65, -v20
	v_add_nc_u32_e32 v13, v13, v25
	v_lshl_add_u32 v83, v15, 3, v77
	v_mul_f32_e32 v26, v9, v64
	v_dual_fmac_f32 v28, v9, v63 :: v_dual_fmac_f32 v21, v3, v65
	s_delay_alu instid0(VALU_DEP_4)
	v_lshl_add_u32 v80, v13, 3, v77
	ds_load_2addr_b64 v[12:15], v76 offset1:22
	ds_load_2addr_b64 v[16:19], v76 offset0:44 offset1:66
	v_fma_f32 v3, v4, v67, -v22
	v_mul_f32_e32 v23, v7, v70
	s_wait_loadcnt 0x0
	v_dual_mul_f32 v29, v10, v62 :: v_dual_fmac_f32 v24, v5, v67
	v_fma_f32 v5, v8, v63, -v26
	v_mul_f32_e32 v27, v11, v62
	global_wb scope:SCOPE_SE
	s_wait_dscnt 0x0
	v_fmac_f32_e32 v29, v11, v61
	s_barrier_signal -1
	s_barrier_wait -1
	global_inv scope:SCOPE_SE
	v_sub_f32_e32 v39, v1, v29
	s_delay_alu instid0(VALU_DEP_1)
	v_fma_f32 v37, v1, 2.0, -v39
	v_sub_f32_e32 v26, v14, v3
	v_sub_f32_e32 v34, v18, v5
	v_fma_f32 v4, v6, v69, -v23
	v_mul_f32_e32 v25, v6, v70
	v_fma_f32 v6, v10, v61, -v27
	v_dual_sub_f32 v22, v12, v2 :: v_dual_sub_f32 v27, v15, v24
	s_delay_alu instid0(VALU_DEP_3) | instskip(NEXT) | instid1(VALU_DEP_3)
	v_dual_sub_f32 v30, v16, v4 :: v_dual_fmac_f32 v25, v7, v69
	v_dual_sub_f32 v35, v19, v28 :: v_dual_sub_f32 v38, v0, v6
	v_sub_f32_e32 v23, v13, v21
	s_delay_alu instid0(VALU_DEP_4) | instskip(NEXT) | instid1(VALU_DEP_4)
	v_fma_f32 v20, v12, 2.0, -v22
	v_sub_f32_e32 v31, v17, v25
	v_fma_f32 v24, v14, 2.0, -v26
	v_fma_f32 v25, v15, 2.0, -v27
	;; [unrolled: 1-line block ×8, first 2 shown]
	ds_store_2addr_b64 v84, v[20:21], v[22:23] offset1:10
	ds_store_2addr_b64 v83, v[24:25], v[26:27] offset1:10
	;; [unrolled: 1-line block ×5, first 2 shown]
	global_wb scope:SCOPE_SE
	s_wait_dscnt 0x0
	s_barrier_signal -1
	s_barrier_wait -1
	global_inv scope:SCOPE_SE
	s_and_saveexec_b32 s0, vcc_lo
	s_cbranch_execz .LBB0_3
; %bb.2:
	ds_load_2addr_b64 v[20:23], v76 offset1:20
	ds_load_2addr_b64 v[24:27], v76 offset0:40 offset1:60
	ds_load_2addr_b64 v[28:31], v76 offset0:80 offset1:100
	;; [unrolled: 1-line block ×4, first 2 shown]
	ds_load_b64 v[71:72], v76 offset:1600
.LBB0_3:
	s_wait_alu 0xfffe
	s_or_b32 exec_lo, exec_lo, s0
	v_subrev_nc_u32_e32 v0, 20, v75
	s_delay_alu instid0(VALU_DEP_1) | instskip(NEXT) | instid1(VALU_DEP_1)
	v_cndmask_b32_e32 v0, v0, v75, vcc_lo
	v_mul_i32_i24_e32 v1, 0x50, v0
	v_mul_hi_i32_i24_e32 v0, 0x50, v0
	s_delay_alu instid0(VALU_DEP_2) | instskip(SKIP_1) | instid1(VALU_DEP_2)
	v_add_co_u32 v16, s0, s10, v1
	s_wait_alu 0xf1ff
	v_add_co_ci_u32_e64 v17, s0, s11, v0, s0
	s_clause 0x4
	global_load_b128 v[12:15], v[16:17], off offset:80
	global_load_b128 v[4:7], v[16:17], off offset:96
	;; [unrolled: 1-line block ×5, first 2 shown]
	s_wait_loadcnt_dscnt 0x404
	v_dual_mul_f32 v94, v23, v13 :: v_dual_mul_f32 v95, v25, v15
	s_wait_loadcnt_dscnt 0x202
	v_dual_mul_f32 v102, v31, v1 :: v_dual_mul_f32 v103, v33, v3
	s_wait_loadcnt_dscnt 0x0
	v_dual_mul_f32 v106, v39, v17 :: v_dual_mul_f32 v107, v72, v19
	v_dual_mul_f32 v96, v22, v13 :: v_dual_mul_f32 v93, v24, v15
	v_mul_f32_e32 v97, v27, v5
	v_dual_mul_f32 v92, v26, v5 :: v_dual_mul_f32 v91, v28, v7
	v_dual_mul_f32 v98, v29, v7 :: v_dual_mul_f32 v85, v38, v17
	;; [unrolled: 1-line block ×5, first 2 shown]
	v_dual_mul_f32 v86, v71, v19 :: v_dual_fmac_f32 v93, v25, v14
	v_fma_f32 v101, v22, v12, -v94
	v_fma_f32 v100, v24, v14, -v95
	;; [unrolled: 1-line block ×4, first 2 shown]
	v_dual_fmac_f32 v96, v23, v12 :: v_dual_fmac_f32 v91, v29, v6
	v_fma_f32 v99, v26, v4, -v97
	v_dual_fmac_f32 v92, v27, v4 :: v_dual_fmac_f32 v89, v33, v2
	v_fma_f32 v98, v28, v6, -v98
	v_fma_f32 v97, v30, v0, -v102
	;; [unrolled: 1-line block ×3, first 2 shown]
	v_dual_fmac_f32 v86, v72, v18 :: v_dual_fmac_f32 v85, v39, v16
	v_fmac_f32_e32 v88, v35, v8
	v_fma_f32 v33, v38, v16, -v106
	v_sub_f32_e32 v112, v101, v32
	v_dual_fmac_f32 v90, v31, v0 :: v_dual_fmac_f32 v87, v37, v10
	v_add_f32_e32 v29, v96, v86
	s_delay_alu instid0(VALU_DEP_4) | instskip(SKIP_1) | instid1(VALU_DEP_4)
	v_add_f32_e32 v23, v100, v33
	v_dual_sub_f32 v114, v100, v33 :: v_dual_sub_f32 v113, v98, v94
	v_dual_sub_f32 v108, v93, v85 :: v_dual_add_f32 v27, v92, v87
	v_dual_sub_f32 v106, v91, v88 :: v_dual_sub_f32 v103, v90, v89
	v_dual_add_f32 v28, v97, v95 :: v_dual_mul_f32 v111, 0xbf0a6770, v112
	v_dual_add_f32 v22, v101, v32 :: v_dual_sub_f32 v107, v96, v86
	v_dual_add_f32 v30, v91, v88 :: v_dual_add_f32 v31, v90, v89
	s_delay_alu instid0(VALU_DEP_4) | instskip(NEXT) | instid1(VALU_DEP_4)
	v_dual_mul_f32 v35, 0xbf4178ce, v106 :: v_dual_mul_f32 v102, 0xbf4178ce, v113
	v_fma_f32 v71, 0x3f575c64, v29, -v111
	v_mul_f32_e32 v38, 0xbf68dda4, v108
	v_fma_f32 v34, v36, v10, -v105
	v_add_f32_e32 v25, v93, v85
	v_fma_f32 v120, 0xbf27a4f4, v30, -v102
	s_delay_alu instid0(VALU_DEP_4) | instskip(NEXT) | instid1(VALU_DEP_4)
	v_dual_add_f32 v71, v21, v71 :: v_dual_fmamk_f32 v72, v23, 0x3ed4b147, v38
	v_dual_mul_f32 v39, 0xbf0a6770, v107 :: v_dual_sub_f32 v116, v99, v34
	v_dual_sub_f32 v109, v92, v87 :: v_dual_add_f32 v24, v99, v34
	v_dual_add_f32 v26, v98, v94 :: v_dual_sub_f32 v115, v97, v95
	s_delay_alu instid0(VALU_DEP_3) | instskip(SKIP_1) | instid1(VALU_DEP_4)
	v_fmamk_f32 v36, v22, 0x3f575c64, v39
	v_mul_f32_e32 v110, 0xbf68dda4, v114
	v_dual_mul_f32 v37, 0xbf7d64f0, v109 :: v_dual_mul_f32 v104, 0xbf7d64f0, v116
	s_delay_alu instid0(VALU_DEP_3) | instskip(NEXT) | instid1(VALU_DEP_3)
	v_add_f32_e32 v117, v20, v36
	v_fma_f32 v105, 0x3ed4b147, v25, -v110
	s_delay_alu instid0(VALU_DEP_3) | instskip(NEXT) | instid1(VALU_DEP_2)
	v_fma_f32 v119, 0xbe11bafb, v27, -v104
	v_dual_add_f32 v72, v72, v117 :: v_dual_add_f32 v71, v105, v71
	v_fmamk_f32 v118, v24, 0xbe11bafb, v37
	v_fmamk_f32 v117, v26, 0xbf27a4f4, v35
	s_delay_alu instid0(VALU_DEP_3) | instskip(NEXT) | instid1(VALU_DEP_3)
	v_add_f32_e32 v71, v119, v71
	v_dual_mul_f32 v105, 0xbe903f40, v115 :: v_dual_add_f32 v72, v118, v72
	s_delay_alu instid0(VALU_DEP_1) | instskip(NEXT) | instid1(VALU_DEP_2)
	v_fma_f32 v119, 0xbf75a155, v31, -v105
	v_add_f32_e32 v72, v117, v72
	v_mul_f32_e32 v36, 0xbe903f40, v103
	v_add_f32_e32 v117, v120, v71
	s_delay_alu instid0(VALU_DEP_2) | instskip(NEXT) | instid1(VALU_DEP_1)
	v_fmamk_f32 v118, v28, 0xbf75a155, v36
	v_dual_add_f32 v71, v118, v72 :: v_dual_add_f32 v72, v119, v117
	s_and_saveexec_b32 s0, vcc_lo
	s_cbranch_execz .LBB0_5
; %bb.4:
	v_dual_mul_f32 v123, 0xbe11bafb, v29 :: v_dual_mul_f32 v130, 0xbe11bafb, v27
	v_dual_mul_f32 v131, 0xbf27a4f4, v26 :: v_dual_mul_f32 v144, 0xbf27a4f4, v27
	v_mul_f32_e32 v148, 0x3f0a6770, v108
	v_dual_mul_f32 v124, 0xbf75a155, v25 :: v_dual_mul_f32 v137, 0xbf75a155, v31
	v_mul_f32_e32 v135, 0xbf7d64f0, v107
	s_delay_alu instid0(VALU_DEP_3)
	v_dual_mul_f32 v122, 0x3f575c64, v25 :: v_dual_fmamk_f32 v149, v23, 0x3f575c64, v148
	v_fmamk_f32 v146, v116, 0x3f4178ce, v144
	v_fmamk_f32 v117, v112, 0x3f7d64f0, v123
	;; [unrolled: 1-line block ×4, first 2 shown]
	v_mul_f32_e32 v136, 0x3f575c64, v30
	v_dual_mul_f32 v127, 0x3ed4b147, v23 :: v_dual_mul_f32 v128, 0x3ed4b147, v25
	v_dual_add_f32 v117, v21, v117 :: v_dual_mul_f32 v132, 0x3ed4b147, v27
	s_delay_alu instid0(VALU_DEP_4) | instskip(SKIP_2) | instid1(VALU_DEP_4)
	v_add_f32_e32 v119, v20, v119
	v_mul_f32_e32 v139, 0xbf27a4f4, v31
	v_mul_f32_e32 v141, 0xbf0a6770, v106
	v_dual_add_f32 v117, v118, v117 :: v_dual_fmamk_f32 v118, v116, 0xbf68dda4, v132
	v_dual_mul_f32 v134, 0xbf75a155, v28 :: v_dual_mul_f32 v121, 0xbf75a155, v29
	v_fmamk_f32 v143, v114, 0xbf0a6770, v122
	v_dual_add_f32 v110, v110, v128 :: v_dual_add_f32 v101, v20, v101
	s_delay_alu instid0(VALU_DEP_4) | instskip(SKIP_4) | instid1(VALU_DEP_4)
	v_dual_add_f32 v117, v118, v117 :: v_dual_fmamk_f32 v118, v113, 0x3f0a6770, v136
	v_mul_f32_e32 v138, 0x3e903f40, v108
	v_fmac_f32_e32 v123, 0xbf7d64f0, v112
	v_fmac_f32_e32 v124, 0x3e903f40, v114
	v_mul_f32_e32 v145, 0xbe903f40, v107
	v_dual_add_f32 v117, v118, v117 :: v_dual_fmamk_f32 v120, v23, 0xbf75a155, v138
	s_delay_alu instid0(VALU_DEP_4) | instskip(SKIP_2) | instid1(VALU_DEP_4)
	v_dual_add_f32 v123, v21, v123 :: v_dual_fmac_f32 v132, 0x3f68dda4, v116
	v_fmac_f32_e32 v136, 0xbf0a6770, v113
	v_mul_f32_e32 v151, 0x3f68dda4, v106
	v_dual_add_f32 v119, v120, v119 :: v_dual_mul_f32 v140, 0x3f68dda4, v109
	s_delay_alu instid0(VALU_DEP_4)
	v_add_f32_e32 v123, v124, v123
	v_mul_f32_e32 v147, 0x3ed4b147, v30
	v_mul_f32_e32 v154, 0xbe903f40, v106
	v_dual_mul_f32 v125, 0x3f575c64, v22 :: v_dual_mul_f32 v126, 0x3f575c64, v29
	v_fmamk_f32 v120, v24, 0x3ed4b147, v140
	v_add_f32_e32 v132, v132, v123
	v_fma_f32 v138, 0xbf75a155, v23, -v138
	v_dual_sub_f32 v35, v131, v35 :: v_dual_fmac_f32 v144, 0xbf4178ce, v116
	s_delay_alu instid0(VALU_DEP_4) | instskip(SKIP_3) | instid1(VALU_DEP_4)
	v_dual_add_f32 v119, v120, v119 :: v_dual_fmamk_f32 v120, v26, 0x3f575c64, v141
	v_fmamk_f32 v118, v115, 0x3f4178ce, v139
	v_add_f32_e32 v132, v136, v132
	v_mul_f32_e32 v156, 0x3f68dda4, v103
	v_dual_mul_f32 v152, 0x3f7d64f0, v108 :: v_dual_add_f32 v119, v120, v119
	s_delay_alu instid0(VALU_DEP_4) | instskip(SKIP_2) | instid1(VALU_DEP_3)
	v_dual_mul_f32 v129, 0xbe11bafb, v24 :: v_dual_add_f32 v118, v118, v117
	v_fmamk_f32 v117, v112, 0x3e903f40, v121
	v_fmac_f32_e32 v121, 0xbe903f40, v112
	v_dual_mul_f32 v142, 0xbf4178ce, v103 :: v_dual_sub_f32 v37, v129, v37
	s_delay_alu instid0(VALU_DEP_3) | instskip(NEXT) | instid1(VALU_DEP_3)
	v_dual_add_f32 v126, v111, v126 :: v_dual_add_f32 v117, v21, v117
	v_add_f32_e32 v121, v21, v121
	s_delay_alu instid0(VALU_DEP_3) | instskip(NEXT) | instid1(VALU_DEP_3)
	v_dual_mul_f32 v133, 0xbf27a4f4, v30 :: v_dual_fmamk_f32 v120, v28, 0xbf27a4f4, v142
	v_dual_mul_f32 v153, 0xbf0a6770, v109 :: v_dual_add_f32 v126, v21, v126
	s_delay_alu instid0(VALU_DEP_4) | instskip(SKIP_1) | instid1(VALU_DEP_4)
	v_add_f32_e32 v143, v143, v117
	v_fma_f32 v142, 0xbf27a4f4, v28, -v142
	v_add_f32_e32 v117, v120, v119
	v_fmamk_f32 v119, v22, 0xbf75a155, v145
	v_fma_f32 v145, 0xbf75a155, v22, -v145
	v_fmac_f32_e32 v122, 0x3f0a6770, v114
	v_add_f32_e32 v110, v110, v126
	s_delay_alu instid0(VALU_DEP_4) | instskip(NEXT) | instid1(VALU_DEP_3)
	v_dual_add_f32 v96, v21, v96 :: v_dual_add_f32 v119, v20, v119
	v_dual_mul_f32 v106, 0x3f7d64f0, v106 :: v_dual_add_f32 v121, v122, v121
	s_delay_alu instid0(VALU_DEP_2) | instskip(NEXT) | instid1(VALU_DEP_3)
	v_dual_sub_f32 v36, v134, v36 :: v_dual_add_f32 v93, v96, v93
	v_add_f32_e32 v119, v149, v119
	v_dual_add_f32 v120, v146, v143 :: v_dual_fmamk_f32 v143, v113, 0xbf68dda4, v147
	s_delay_alu instid0(VALU_DEP_4) | instskip(SKIP_2) | instid1(VALU_DEP_4)
	v_dual_mul_f32 v146, 0xbe11bafb, v31 :: v_dual_add_f32 v121, v144, v121
	v_mul_f32_e32 v144, 0xbf4178ce, v112
	v_mul_f32_e32 v112, 0xbf68dda4, v112
	v_add_f32_e32 v120, v143, v120
	s_delay_alu instid0(VALU_DEP_4)
	v_fmamk_f32 v143, v115, 0x3f7d64f0, v146
	v_fmac_f32_e32 v147, 0x3f68dda4, v113
	v_fma_f32 v135, 0xbe11bafb, v22, -v135
	v_fmamk_f32 v136, v29, 0x3ed4b147, v112
	v_add_f32_e32 v92, v93, v92
	v_dual_add_f32 v120, v143, v120 :: v_dual_fmamk_f32 v143, v26, 0x3ed4b147, v151
	v_mul_f32_e32 v150, 0xbf4178ce, v109
	v_add_f32_e32 v121, v147, v121
	v_mul_f32_e32 v147, 0x3f7d64f0, v114
	v_fmac_f32_e32 v139, 0xbf4178ce, v115
	v_add_f32_e32 v135, v20, v135
	v_fmamk_f32 v149, v24, 0xbf27a4f4, v150
	v_mul_f32_e32 v114, 0xbf4178ce, v114
	v_dual_add_f32 v136, v21, v136 :: v_dual_add_f32 v91, v92, v91
	s_delay_alu instid0(VALU_DEP_4) | instskip(NEXT) | instid1(VALU_DEP_4)
	v_add_f32_e32 v135, v138, v135
	v_add_f32_e32 v119, v149, v119
	v_mul_f32_e32 v149, 0xbf7d64f0, v103
	v_fma_f32 v138, 0x3ed4b147, v24, -v140
	v_fmamk_f32 v140, v25, 0xbf27a4f4, v114
	v_add_f32_e32 v90, v91, v90
	s_delay_alu instid0(VALU_DEP_4)
	v_dual_add_f32 v119, v143, v119 :: v_dual_fmamk_f32 v122, v28, 0xbe11bafb, v149
	v_add_f32_e32 v143, v20, v145
	v_fma_f32 v145, 0x3f575c64, v23, -v148
	v_fma_f32 v148, 0x3ed4b147, v26, -v151
	v_mul_f32_e32 v151, 0xbf0a6770, v116
	v_dual_add_f32 v119, v122, v119 :: v_dual_mul_f32 v116, 0x3e903f40, v116
	s_delay_alu instid0(VALU_DEP_4)
	v_add_f32_e32 v122, v145, v143
	v_fma_f32 v143, 0xbf27a4f4, v24, -v150
	v_fmamk_f32 v150, v25, 0xbe11bafb, v147
	v_fmamk_f32 v145, v29, 0xbf27a4f4, v144
	v_fmac_f32_e32 v146, 0xbf7d64f0, v115
	v_add_f32_e32 v135, v138, v135
	v_add_f32_e32 v143, v143, v122
	v_fma_f32 v138, 0x3f575c64, v26, -v141
	v_add_f32_e32 v145, v21, v145
	v_add_f32_e32 v122, v146, v121
	s_delay_alu instid0(VALU_DEP_4) | instskip(SKIP_1) | instid1(VALU_DEP_4)
	v_dual_fmamk_f32 v146, v27, 0x3f575c64, v151 :: v_dual_add_f32 v121, v148, v143
	v_mul_f32_e32 v143, 0xbf4178ce, v107
	v_add_f32_e32 v145, v150, v145
	v_mul_f32_e32 v148, 0xbe903f40, v113
	v_mul_f32_e32 v141, 0xbf68dda4, v107
	v_dual_add_f32 v107, v140, v136 :: v_dual_fmamk_f32 v136, v27, 0xbf75a155, v116
	s_delay_alu instid0(VALU_DEP_4) | instskip(NEXT) | instid1(VALU_DEP_4)
	v_add_f32_e32 v145, v146, v145
	v_fmamk_f32 v146, v30, 0xbf75a155, v148
	v_add_f32_e32 v135, v138, v135
	v_fma_f32 v138, 0x3ed4b147, v22, -v141
	v_fma_f32 v150, 0xbf27a4f4, v22, -v143
	v_add_f32_e32 v89, v90, v89
	v_dual_add_f32 v145, v146, v145 :: v_dual_mul_f32 v146, 0x3f68dda4, v115
	v_add_f32_e32 v107, v136, v107
	v_add_f32_e32 v136, v20, v138
	s_delay_alu instid0(VALU_DEP_4)
	v_add_f32_e32 v88, v89, v88
	v_fma_f32 v149, 0xbe11bafb, v28, -v149
	v_fmamk_f32 v155, v31, 0x3ed4b147, v146
	v_mul_f32_e32 v113, 0x3f7d64f0, v113
	v_mul_f32_e32 v140, 0xbf4178ce, v108
	v_add_f32_e32 v96, v101, v100
	v_add_f32_e32 v121, v149, v121
	s_delay_alu instid0(VALU_DEP_4)
	v_dual_add_f32 v149, v20, v150 :: v_dual_fmamk_f32 v108, v30, 0xbe11bafb, v113
	v_fma_f32 v150, 0xbe11bafb, v23, -v152
	v_add_f32_e32 v124, v155, v145
	v_fma_f32 v138, 0xbf27a4f4, v23, -v140
	v_add_f32_e32 v100, v104, v130
	v_fmac_f32_e32 v143, 0xbf27a4f4, v22
	v_add_f32_e32 v149, v150, v149
	v_fma_f32 v150, 0x3f575c64, v24, -v153
	v_fmac_f32_e32 v153, 0x3f575c64, v24
	v_dual_add_f32 v93, v96, v99 :: v_dual_add_f32 v136, v138, v136
	s_delay_alu instid0(VALU_DEP_3) | instskip(SKIP_1) | instid1(VALU_DEP_3)
	v_dual_add_f32 v96, v100, v110 :: v_dual_add_f32 v149, v150, v149
	v_fma_f32 v150, 0xbf75a155, v26, -v154
	v_dual_add_f32 v92, v93, v98 :: v_dual_add_f32 v99, v102, v133
	v_fma_f32 v128, 0xbe11bafb, v26, -v106
	s_delay_alu instid0(VALU_DEP_3) | instskip(SKIP_1) | instid1(VALU_DEP_4)
	v_dual_fmac_f32 v152, 0xbe11bafb, v23 :: v_dual_add_f32 v145, v150, v149
	v_fma_f32 v149, 0x3ed4b147, v28, -v156
	v_add_f32_e32 v91, v92, v97
	v_mul_f32_e32 v109, 0x3e903f40, v109
	v_dual_add_f32 v93, v99, v96 :: v_dual_add_f32 v96, v105, v137
	s_delay_alu instid0(VALU_DEP_3) | instskip(NEXT) | instid1(VALU_DEP_3)
	v_dual_add_f32 v123, v149, v145 :: v_dual_add_f32 v90, v91, v95
	v_fma_f32 v138, 0xbf75a155, v24, -v109
	v_dual_add_f32 v145, v108, v107 :: v_dual_add_f32 v108, v139, v132
	v_fmac_f32_e32 v141, 0x3ed4b147, v22
	s_delay_alu instid0(VALU_DEP_3) | instskip(SKIP_3) | instid1(VALU_DEP_4)
	v_dual_sub_f32 v39, v125, v39 :: v_dual_add_f32 v132, v138, v136
	v_add_f32_e32 v22, v20, v143
	v_sub_f32_e32 v92, v127, v38
	v_fma_f32 v91, 0xbf27a4f4, v29, -v144
	v_dual_add_f32 v39, v20, v39 :: v_dual_fmac_f32 v106, 0xbe11bafb, v26
	v_dual_add_f32 v101, v128, v132 :: v_dual_fmac_f32 v140, 0xbf27a4f4, v23
	v_add_f32_e32 v89, v90, v94
	v_dual_mul_f32 v115, 0x3f0a6770, v115 :: v_dual_add_f32 v20, v20, v141
	v_add_f32_e32 v22, v152, v22
	v_fma_f32 v29, 0x3ed4b147, v29, -v112
	s_delay_alu instid0(VALU_DEP_3)
	v_dual_add_f32 v34, v89, v34 :: v_dual_fmamk_f32 v149, v31, 0x3f575c64, v115
	v_add_f32_e32 v90, v21, v91
	v_fma_f32 v91, 0xbe11bafb, v25, -v147
	v_add_f32_e32 v20, v140, v20
	v_dual_fmac_f32 v109, 0xbf75a155, v24 :: v_dual_add_f32 v22, v153, v22
	v_dual_fmac_f32 v154, 0xbf75a155, v26 :: v_dual_add_f32 v39, v92, v39
	v_add_f32_e32 v21, v21, v29
	v_fma_f32 v25, 0xbf27a4f4, v25, -v114
	s_delay_alu instid0(VALU_DEP_4) | instskip(NEXT) | instid1(VALU_DEP_4)
	v_add_f32_e32 v20, v109, v20
	v_add_f32_e32 v22, v154, v22
	v_dual_fmac_f32 v156, 0x3ed4b147, v28 :: v_dual_add_f32 v37, v37, v39
	v_add_f32_e32 v39, v88, v87
	v_add_f32_e32 v87, v91, v90
	v_fma_f32 v88, 0x3f575c64, v27, -v151
	v_add_f32_e32 v21, v25, v21
	v_fma_f32 v23, 0xbf75a155, v27, -v116
	v_dual_mul_f32 v103, 0x3f0a6770, v103 :: v_dual_add_f32 v34, v34, v33
	v_add_f32_e32 v39, v39, v85
	v_add_f32_e32 v85, v88, v87
	v_fma_f32 v87, 0xbf75a155, v30, -v148
	v_dual_add_f32 v25, v106, v20 :: v_dual_add_f32 v20, v156, v22
	v_add_f32_e32 v35, v35, v37
	v_add_f32_e32 v21, v23, v21
	v_fma_f32 v23, 0xbe11bafb, v30, -v113
	v_fma_f32 v104, 0x3f575c64, v28, -v103
	v_dual_add_f32 v111, v149, v145 :: v_dual_add_f32 v32, v34, v32
	v_dual_add_f32 v38, v96, v93 :: v_dual_add_f32 v107, v142, v135
	;; [unrolled: 1-line block ×3, first 2 shown]
	v_fma_f32 v35, 0x3ed4b147, v31, -v146
	v_add_f32_e32 v33, v39, v86
	v_add_f32_e32 v23, v23, v21
	v_fma_f32 v24, 0x3f575c64, v31, -v115
	v_dual_fmac_f32 v103, 0x3f575c64, v28 :: v_dual_add_f32 v110, v104, v101
	v_lshl_add_u32 v26, v75, 3, v77
	v_add_f32_e32 v21, v35, v34
	s_delay_alu instid0(VALU_DEP_3)
	v_dual_add_f32 v23, v24, v23 :: v_dual_add_f32 v22, v103, v25
	ds_store_b64 v76, v[32:33]
	ds_store_2addr_b64 v26, v[37:38], v[110:111] offset0:20 offset1:40
	ds_store_2addr_b64 v26, v[107:108], v[123:124] offset0:60 offset1:80
	;; [unrolled: 1-line block ×5, first 2 shown]
.LBB0_5:
	s_wait_alu 0xfffe
	s_or_b32 exec_lo, exec_lo, s0
	s_add_nc_u64 s[0:1], s[8:9], 0x6e0
	global_wb scope:SCOPE_SE
	s_wait_dscnt 0x0
	s_barrier_signal -1
	s_barrier_wait -1
	global_inv scope:SCOPE_SE
	s_clause 0x9
	global_load_b64 v[73:74], v[73:74], off offset:1760
	global_load_b64 v[85:86], v78, s[0:1] offset:176
	global_load_b64 v[87:88], v78, s[0:1] offset:352
	;; [unrolled: 1-line block ×9, first 2 shown]
	ds_load_2addr_b64 v[20:23], v76 offset1:22
	ds_load_2addr_b64 v[24:27], v76 offset0:44 offset1:66
	ds_load_2addr_b64 v[28:31], v76 offset0:88 offset1:110
	;; [unrolled: 1-line block ×4, first 2 shown]
	s_wait_loadcnt_dscnt 0x904
	v_mul_f32_e32 v78, v21, v74
	v_mul_f32_e32 v103, v20, v74
	s_wait_loadcnt 0x8
	v_mul_f32_e32 v74, v22, v86
	s_wait_loadcnt_dscnt 0x703
	v_dual_mul_f32 v104, v23, v86 :: v_dual_mul_f32 v105, v25, v88
	s_wait_loadcnt_dscnt 0x301
	v_dual_mul_f32 v106, v27, v90 :: v_dual_mul_f32 v109, v33, v96
	v_dual_mul_f32 v107, v29, v92 :: v_dual_fmac_f32 v74, v23, v85
	v_dual_mul_f32 v86, v24, v88 :: v_dual_fmac_f32 v103, v21, v73
	s_wait_loadcnt_dscnt 0x100
	v_dual_mul_f32 v88, v26, v90 :: v_dual_mul_f32 v111, v37, v100
	v_mul_f32_e32 v90, v28, v92
	v_mul_f32_e32 v108, v31, v94
	v_mul_f32_e32 v92, v30, v94
	v_mul_f32_e32 v94, v32, v96
	v_mul_f32_e32 v110, v35, v98
	v_mul_f32_e32 v96, v34, v98
	v_mul_f32_e32 v98, v36, v100
	s_wait_loadcnt 0x0
	v_mul_f32_e32 v112, v39, v102
	v_mul_f32_e32 v100, v38, v102
	v_fma_f32 v102, v20, v73, -v78
	v_fma_f32 v73, v22, v85, -v104
	;; [unrolled: 1-line block ×3, first 2 shown]
	v_fmac_f32_e32 v86, v25, v87
	v_fma_f32 v87, v26, v89, -v106
	v_fmac_f32_e32 v88, v27, v89
	v_fma_f32 v89, v28, v91, -v107
	v_fmac_f32_e32 v90, v29, v91
	v_fma_f32 v91, v30, v93, -v108
	v_fmac_f32_e32 v92, v31, v93
	v_fma_f32 v93, v32, v95, -v109
	v_fmac_f32_e32 v94, v33, v95
	v_fma_f32 v95, v34, v97, -v110
	v_fmac_f32_e32 v96, v35, v97
	v_fma_f32 v97, v36, v99, -v111
	v_fmac_f32_e32 v98, v37, v99
	v_fma_f32 v99, v38, v101, -v112
	v_fmac_f32_e32 v100, v39, v101
	ds_store_2addr_b64 v76, v[102:103], v[73:74] offset1:22
	ds_store_2addr_b64 v76, v[85:86], v[87:88] offset0:44 offset1:66
	ds_store_2addr_b64 v76, v[89:90], v[91:92] offset0:88 offset1:110
	;; [unrolled: 1-line block ×4, first 2 shown]
	global_wb scope:SCOPE_SE
	s_wait_dscnt 0x0
	s_barrier_signal -1
	s_barrier_wait -1
	global_inv scope:SCOPE_SE
	ds_load_2addr_b64 v[20:23], v76 offset1:22
	ds_load_2addr_b64 v[24:27], v76 offset0:44 offset1:66
	ds_load_2addr_b64 v[28:31], v76 offset0:88 offset1:110
	;; [unrolled: 1-line block ×4, first 2 shown]
	global_wb scope:SCOPE_SE
	s_wait_dscnt 0x0
	s_barrier_signal -1
	s_barrier_wait -1
	global_inv scope:SCOPE_SE
	v_add_f32_e32 v73, v20, v24
	v_sub_f32_e32 v86, v24, v28
	v_dual_add_f32 v74, v28, v32 :: v_dual_add_f32 v107, v23, v27
	v_sub_f32_e32 v87, v36, v32
	v_dual_add_f32 v88, v24, v36 :: v_dual_sub_f32 v113, v35, v39
	v_add_f32_e32 v91, v21, v25
	v_add_f32_e32 v92, v29, v33
	v_dual_sub_f32 v100, v27, v39 :: v_dual_sub_f32 v109, v30, v34
	v_sub_f32_e32 v110, v27, v31
	v_add_f32_e32 v112, v27, v39
	v_dual_sub_f32 v27, v31, v27 :: v_dual_sub_f32 v78, v25, v37
	v_sub_f32_e32 v111, v39, v35
	v_sub_f32_e32 v85, v29, v33
	;; [unrolled: 1-line block ×3, first 2 shown]
	s_delay_alu instid0(VALU_DEP_4)
	v_dual_sub_f32 v24, v24, v36 :: v_dual_add_f32 v27, v27, v113
	v_sub_f32_e32 v93, v28, v32
	v_sub_f32_e32 v101, v31, v35
	v_add_f32_e32 v108, v31, v35
	v_add_f32_e32 v28, v73, v28
	v_fma_f32 v73, -0.5, v74, v20
	v_sub_f32_e32 v94, v25, v29
	v_add_f32_e32 v74, v86, v87
	v_add_f32_e32 v31, v107, v31
	v_fma_f32 v87, -0.5, v92, v21
	v_add_f32_e32 v96, v25, v37
	v_sub_f32_e32 v25, v29, v25
	v_add_f32_e32 v29, v91, v29
	v_sub_f32_e32 v95, v37, v33
	v_dual_sub_f32 v97, v33, v37 :: v_dual_sub_f32 v90, v32, v36
	v_sub_f32_e32 v102, v26, v30
	v_sub_f32_e32 v103, v38, v34
	v_add_f32_e32 v29, v29, v33
	v_fmamk_f32 v33, v24, 0x3f737871, v87
	v_fmac_f32_e32 v87, 0xbf737871, v24
	v_sub_f32_e32 v105, v30, v26
	v_fma_f32 v86, -0.5, v88, v20
	v_add_f32_e32 v98, v22, v26
	v_dual_add_f32 v20, v89, v90 :: v_dual_fmac_f32 v33, 0x3f167918, v93
	v_fma_f32 v89, -0.5, v96, v21
	v_add_f32_e32 v104, v26, v38
	v_dual_sub_f32 v26, v26, v38 :: v_dual_add_f32 v31, v31, v35
	v_dual_add_f32 v90, v102, v103 :: v_dual_fmac_f32 v87, 0xbf167918, v93
	v_add_f32_e32 v28, v28, v32
	v_fmamk_f32 v32, v78, 0xbf737871, v73
	v_dual_fmac_f32 v73, 0x3f737871, v78 :: v_dual_add_f32 v88, v94, v95
	v_add_f32_e32 v29, v29, v37
	v_add_f32_e32 v21, v25, v97
	v_fmamk_f32 v95, v85, 0x3f737871, v86
	v_add_f32_e32 v25, v98, v30
	v_fmac_f32_e32 v87, 0x3e9e377a, v88
	v_dual_fmamk_f32 v96, v93, 0xbf737871, v89 :: v_dual_add_f32 v99, v30, v34
	v_fmac_f32_e32 v33, 0x3e9e377a, v88
	s_delay_alu instid0(VALU_DEP_4)
	v_add_f32_e32 v25, v25, v34
	v_fma_f32 v92, -0.5, v108, v23
	v_fmac_f32_e32 v23, -0.5, v112
	v_fmac_f32_e32 v96, 0x3f167918, v24
	v_fma_f32 v30, -0.5, v99, v22
	v_fmac_f32_e32 v89, 0x3f737871, v93
	v_fmamk_f32 v35, v26, 0x3f737871, v92
	v_fma_f32 v22, -0.5, v104, v22
	v_fmac_f32_e32 v96, 0x3e9e377a, v21
	v_fmamk_f32 v98, v109, 0xbf737871, v23
	v_dual_fmac_f32 v23, 0x3f737871, v109 :: v_dual_sub_f32 v106, v34, v38
	s_delay_alu instid0(VALU_DEP_4)
	v_dual_fmamk_f32 v97, v101, 0x3f737871, v22 :: v_dual_add_f32 v94, v110, v111
	v_fmac_f32_e32 v89, 0xbf167918, v24
	v_fmac_f32_e32 v95, 0xbf167918, v78
	v_dual_add_f32 v24, v25, v38 :: v_dual_add_f32 v25, v31, v39
	v_fmamk_f32 v34, v100, 0xbf737871, v30
	v_dual_add_f32 v28, v28, v36 :: v_dual_fmac_f32 v35, 0x3f167918, v109
	v_fmac_f32_e32 v98, 0x3f167918, v26
	v_fmac_f32_e32 v23, 0xbf167918, v26
	;; [unrolled: 1-line block ×4, first 2 shown]
	s_delay_alu instid0(VALU_DEP_4) | instskip(NEXT) | instid1(VALU_DEP_4)
	v_dual_fmac_f32 v35, 0x3e9e377a, v94 :: v_dual_fmac_f32 v98, 0x3e9e377a, v27
	v_fmac_f32_e32 v23, 0x3e9e377a, v27
	v_sub_f32_e32 v27, v29, v25
	v_fmac_f32_e32 v34, 0xbf167918, v101
	v_fmac_f32_e32 v89, 0x3e9e377a, v21
	v_add_f32_e32 v21, v29, v25
	v_dual_fmac_f32 v32, 0xbf167918, v85 :: v_dual_fmac_f32 v97, 0xbf167918, v100
	s_delay_alu instid0(VALU_DEP_4) | instskip(SKIP_2) | instid1(VALU_DEP_4)
	v_fmac_f32_e32 v34, 0x3e9e377a, v90
	v_add_f32_e32 v91, v105, v106
	v_fmac_f32_e32 v73, 0x3e9e377a, v74
	v_fmac_f32_e32 v32, 0x3e9e377a, v74
	v_dual_fmac_f32 v86, 0xbf737871, v85 :: v_dual_mul_f32 v37, 0xbf737871, v98
	v_mul_f32_e32 v74, 0x3f167918, v34
	v_mul_f32_e32 v38, 0xbf737871, v23
	v_mul_f32_e32 v85, 0xbe9e377a, v23
	v_fmac_f32_e32 v97, 0x3e9e377a, v91
	v_mul_f32_e32 v36, 0xbf167918, v35
	v_fmac_f32_e32 v74, 0x3f4f1bbd, v35
	v_fmac_f32_e32 v22, 0xbf737871, v101
	s_delay_alu instid0(VALU_DEP_4) | instskip(NEXT) | instid1(VALU_DEP_4)
	v_fmac_f32_e32 v37, 0x3e9e377a, v97
	v_fmac_f32_e32 v36, 0x3f4f1bbd, v34
	s_delay_alu instid0(VALU_DEP_3) | instskip(NEXT) | instid1(VALU_DEP_3)
	v_dual_add_f32 v23, v33, v74 :: v_dual_fmac_f32 v22, 0x3f167918, v100
	v_dual_sub_f32 v33, v33, v74 :: v_dual_sub_f32 v34, v95, v37
	s_delay_alu instid0(VALU_DEP_2) | instskip(NEXT) | instid1(VALU_DEP_1)
	v_fmac_f32_e32 v22, 0x3e9e377a, v91
	v_fmac_f32_e32 v38, 0xbe9e377a, v22
	v_dual_fmac_f32 v30, 0x3f737871, v100 :: v_dual_fmac_f32 v85, 0x3f737871, v22
	v_fmac_f32_e32 v86, 0x3f167918, v78
	v_mul_f32_e32 v78, 0x3e9e377a, v98
	v_add_f32_e32 v22, v32, v36
	v_sub_f32_e32 v32, v32, v36
	s_delay_alu instid0(VALU_DEP_4) | instskip(NEXT) | instid1(VALU_DEP_4)
	v_fmac_f32_e32 v86, 0x3e9e377a, v20
	v_fmac_f32_e32 v78, 0x3f737871, v97
	;; [unrolled: 1-line block ×3, first 2 shown]
	v_add_f32_e32 v20, v28, v24
	s_delay_alu instid0(VALU_DEP_4) | instskip(NEXT) | instid1(VALU_DEP_4)
	v_sub_f32_e32 v36, v86, v38
	v_sub_f32_e32 v35, v96, v78
	s_delay_alu instid0(VALU_DEP_4) | instskip(SKIP_3) | instid1(VALU_DEP_3)
	v_fmac_f32_e32 v30, 0x3e9e377a, v90
	v_dual_fmac_f32 v92, 0xbf737871, v26 :: v_dual_add_f32 v31, v89, v85
	v_sub_f32_e32 v26, v28, v24
	v_dual_add_f32 v28, v95, v37 :: v_dual_add_f32 v29, v96, v78
	v_fmac_f32_e32 v92, 0xbf167918, v109
	s_delay_alu instid0(VALU_DEP_1) | instskip(NEXT) | instid1(VALU_DEP_1)
	v_dual_sub_f32 v37, v89, v85 :: v_dual_fmac_f32 v92, 0x3e9e377a, v94
	v_mul_f32_e32 v39, 0xbf167918, v92
	s_delay_alu instid0(VALU_DEP_1) | instskip(NEXT) | instid1(VALU_DEP_1)
	v_dual_mul_f32 v88, 0xbf4f1bbd, v92 :: v_dual_fmac_f32 v39, 0xbf4f1bbd, v30
	v_fmac_f32_e32 v88, 0x3f167918, v30
	v_add_f32_e32 v30, v86, v38
	s_delay_alu instid0(VALU_DEP_2)
	v_dual_add_f32 v24, v73, v39 :: v_dual_add_f32 v25, v87, v88
	v_dual_sub_f32 v38, v73, v39 :: v_dual_sub_f32 v39, v87, v88
	ds_store_b128 v79, v[20:23]
	ds_store_b128 v79, v[28:31] offset:16
	ds_store_b128 v79, v[24:27] offset:32
	;; [unrolled: 1-line block ×4, first 2 shown]
	global_wb scope:SCOPE_SE
	s_wait_dscnt 0x0
	s_barrier_signal -1
	s_barrier_wait -1
	global_inv scope:SCOPE_SE
	ds_load_2addr_b64 v[36:39], v76 offset0:88 offset1:110
	ds_load_2addr_b64 v[20:23], v76 offset0:132 offset1:154
	;; [unrolled: 1-line block ×3, first 2 shown]
	ds_load_2addr_b64 v[85:88], v76 offset1:22
	ds_load_2addr_b64 v[89:92], v76 offset0:44 offset1:66
	global_wb scope:SCOPE_SE
	s_wait_dscnt 0x0
	s_barrier_signal -1
	s_barrier_wait -1
	global_inv scope:SCOPE_SE
	v_mul_f32_e32 v28, v66, v39
	v_dual_mul_f32 v29, v66, v38 :: v_dual_mul_f32 v30, v68, v21
	v_dual_mul_f32 v31, v68, v20 :: v_dual_mul_f32 v32, v70, v23
	v_dual_mul_f32 v33, v70, v22 :: v_dual_mul_f32 v66, v64, v25
	v_mul_f32_e32 v34, v64, v24
	v_mul_f32_e32 v64, v62, v27
	;; [unrolled: 1-line block ×3, first 2 shown]
	v_fmac_f32_e32 v28, v65, v38
	v_fma_f32 v29, v65, v39, -v29
	v_fmac_f32_e32 v30, v67, v20
	v_fma_f32 v20, v67, v21, -v31
	;; [unrolled: 2-line block ×5, first 2 shown]
	v_dual_sub_f32 v22, v85, v28 :: v_dual_sub_f32 v23, v86, v29
	v_dual_sub_f32 v34, v87, v30 :: v_dual_sub_f32 v35, v88, v20
	;; [unrolled: 1-line block ×5, first 2 shown]
	v_fma_f32 v20, v85, 2.0, -v22
	v_fma_f32 v21, v86, 2.0, -v23
	v_fma_f32 v32, v87, 2.0, -v34
	v_fma_f32 v33, v88, 2.0, -v35
	v_fma_f32 v24, v89, 2.0, -v26
	v_fma_f32 v25, v90, 2.0, -v27
	v_fma_f32 v28, v91, 2.0, -v30
	v_fma_f32 v29, v92, 2.0, -v31
	v_fma_f32 v36, v36, 2.0, -v38
	v_fma_f32 v37, v37, 2.0, -v39
	ds_store_2addr_b64 v84, v[20:21], v[22:23] offset1:10
	ds_store_2addr_b64 v83, v[32:33], v[34:35] offset1:10
	;; [unrolled: 1-line block ×5, first 2 shown]
	global_wb scope:SCOPE_SE
	s_wait_dscnt 0x0
	s_barrier_signal -1
	s_barrier_wait -1
	global_inv scope:SCOPE_SE
	s_and_saveexec_b32 s0, vcc_lo
	s_cbranch_execz .LBB0_7
; %bb.6:
	ds_load_2addr_b64 v[20:23], v76 offset1:20
	ds_load_2addr_b64 v[32:35], v76 offset0:40 offset1:60
	ds_load_2addr_b64 v[24:27], v76 offset0:80 offset1:100
	;; [unrolled: 1-line block ×4, first 2 shown]
	ds_load_b64 v[71:72], v76 offset:1600
.LBB0_7:
	s_wait_alu 0xfffe
	s_or_b32 exec_lo, exec_lo, s0
	s_and_saveexec_b32 s0, vcc_lo
	s_cbranch_execz .LBB0_9
; %bb.8:
	s_wait_dscnt 0x0
	v_dual_mul_f32 v62, v13, v23 :: v_dual_mul_f32 v61, v19, v72
	v_mul_f32_e32 v19, v19, v71
	v_mul_f32_e32 v13, v13, v22
	s_delay_alu instid0(VALU_DEP_3) | instskip(SKIP_2) | instid1(VALU_DEP_2)
	v_fmac_f32_e32 v62, v12, v22
	v_dual_mul_f32 v22, v15, v33 :: v_dual_mul_f32 v63, v17, v39
	v_mul_f32_e32 v15, v15, v32
	v_dual_fmac_f32 v22, v14, v32 :: v_dual_fmac_f32 v63, v16, v38
	v_mul_f32_e32 v17, v17, v38
	v_mul_f32_e32 v38, v5, v35
	v_fmac_f32_e32 v61, v18, v71
	v_fma_f32 v18, v18, v72, -v19
	v_fma_f32 v19, v12, v23, -v13
	;; [unrolled: 1-line block ×3, first 2 shown]
	v_fmac_f32_e32 v38, v4, v34
	v_dual_mul_f32 v5, v5, v34 :: v_dual_mul_f32 v34, v7, v25
	s_delay_alu instid0(VALU_DEP_4) | instskip(SKIP_4) | instid1(VALU_DEP_4)
	v_add_f32_e32 v32, v18, v19
	v_sub_f32_e32 v12, v22, v63
	v_fma_f32 v16, v16, v39, -v17
	v_mul_f32_e32 v39, v11, v37
	v_fma_f32 v35, v4, v35, -v5
	v_dual_mul_f32 v4, v9, v30 :: v_dual_mul_f32 v17, 0x3e903f40, v12
	s_delay_alu instid0(VALU_DEP_4) | instskip(SKIP_3) | instid1(VALU_DEP_4)
	v_dual_add_f32 v33, v16, v14 :: v_dual_fmac_f32 v34, v6, v24
	v_sub_f32_e32 v13, v62, v61
	v_mul_f32_e32 v5, v7, v24
	v_dual_sub_f32 v67, v14, v16 :: v_dual_add_f32 v68, v63, v22
	v_fmamk_f32 v64, v33, 0xbf75a155, v17
	s_delay_alu instid0(VALU_DEP_4) | instskip(SKIP_1) | instid1(VALU_DEP_4)
	v_mul_f32_e32 v23, 0xbf7d64f0, v13
	v_mul_f32_e32 v11, v11, v36
	v_dual_mul_f32 v95, 0xbf4178ce, v67 :: v_dual_sub_f32 v66, v19, v18
	s_delay_alu instid0(VALU_DEP_2) | instskip(SKIP_3) | instid1(VALU_DEP_4)
	v_fma_f32 v37, v10, v37, -v11
	v_dual_fmac_f32 v39, v10, v36 :: v_dual_mul_f32 v36, v9, v31
	v_fmamk_f32 v15, v32, 0xbe11bafb, v23
	v_fma_f32 v23, 0xbe11bafb, v32, -v23
	v_add_f32_e32 v10, v37, v35
	v_sub_f32_e32 v70, v35, v37
	s_delay_alu instid0(VALU_DEP_4) | instskip(SKIP_2) | instid1(VALU_DEP_3)
	v_dual_fmac_f32 v36, v8, v30 :: v_dual_add_f32 v15, v21, v15
	v_fma_f32 v30, v8, v31, -v4
	v_dual_mul_f32 v31, v1, v27 :: v_dual_mul_f32 v8, 0xbf7d64f0, v66
	v_sub_f32_e32 v24, v34, v36
	s_delay_alu instid0(VALU_DEP_4) | instskip(SKIP_1) | instid1(VALU_DEP_4)
	v_add_f32_e32 v4, v64, v15
	v_dual_sub_f32 v65, v38, v39 :: v_dual_mul_f32 v64, v3, v29
	v_fmac_f32_e32 v31, v0, v26
	v_mul_f32_e32 v1, v1, v26
	s_delay_alu instid0(VALU_DEP_3)
	v_dual_add_f32 v26, v61, v62 :: v_dual_mul_f32 v9, 0x3f68dda4, v65
	v_fma_f32 v25, v6, v25, -v5
	v_fmac_f32_e32 v64, v2, v28
	v_mul_f32_e32 v3, v3, v28
	v_mul_f32_e32 v6, 0xbf0a6770, v24
	v_fmamk_f32 v5, v10, 0x3ed4b147, v9
	s_delay_alu instid0(VALU_DEP_4) | instskip(NEXT) | instid1(VALU_DEP_4)
	v_dual_add_f32 v15, v30, v25 :: v_dual_sub_f32 v28, v31, v64
	v_fma_f32 v29, v2, v29, -v3
	v_fma_f32 v27, v0, v27, -v1
	s_delay_alu instid0(VALU_DEP_4) | instskip(SKIP_4) | instid1(VALU_DEP_4)
	v_add_f32_e32 v4, v5, v4
	v_fma_f32 v0, 0xbe11bafb, v26, -v8
	v_fmamk_f32 v5, v15, 0x3f575c64, v6
	v_dual_mul_f32 v11, 0x3e903f40, v67 :: v_dual_add_f32 v72, v39, v38
	v_dual_mul_f32 v69, 0xbf4178ce, v28 :: v_dual_sub_f32 v74, v25, v30
	v_dual_add_f32 v71, v29, v27 :: v_dual_add_f32 v0, v20, v0
	s_delay_alu instid0(VALU_DEP_4) | instskip(NEXT) | instid1(VALU_DEP_4)
	v_add_f32_e32 v4, v5, v4
	v_fma_f32 v1, 0xbf75a155, v68, -v11
	v_mul_f32_e32 v73, 0x3f68dda4, v70
	s_delay_alu instid0(VALU_DEP_4) | instskip(SKIP_1) | instid1(VALU_DEP_4)
	v_dual_fmamk_f32 v2, v71, 0xbf27a4f4, v69 :: v_dual_add_f32 v81, v64, v31
	v_add_f32_e32 v78, v36, v34
	v_add_f32_e32 v0, v1, v0
	s_delay_alu instid0(VALU_DEP_4) | instskip(NEXT) | instid1(VALU_DEP_4)
	v_fma_f32 v3, 0x3ed4b147, v72, -v73
	v_dual_add_f32 v1, v2, v4 :: v_dual_mul_f32 v2, 0xbe903f40, v13
	v_dual_mul_f32 v79, 0xbf0a6770, v74 :: v_dual_sub_f32 v80, v27, v29
	s_delay_alu instid0(VALU_DEP_3) | instskip(NEXT) | instid1(VALU_DEP_3)
	v_dual_add_f32 v0, v3, v0 :: v_dual_mul_f32 v83, 0xbf4178ce, v65
	v_fmamk_f32 v3, v32, 0xbf75a155, v2
	v_mul_f32_e32 v4, 0x3f0a6770, v12
	v_fma_f32 v2, 0xbf75a155, v32, -v2
	v_fma_f32 v5, 0x3f575c64, v78, -v79
	s_delay_alu instid0(VALU_DEP_4) | instskip(NEXT) | instid1(VALU_DEP_3)
	v_dual_mul_f32 v82, 0xbf4178ce, v80 :: v_dual_add_f32 v3, v21, v3
	v_dual_mul_f32 v87, 0xbf7d64f0, v28 :: v_dual_add_f32 v2, v21, v2
	v_fmamk_f32 v7, v33, 0x3f575c64, v4
	v_fma_f32 v4, 0x3f575c64, v33, -v4
	v_dual_mul_f32 v85, 0x3f68dda4, v24 :: v_dual_mul_f32 v90, 0x3f68dda4, v74
	v_mul_f32_e32 v89, 0xbf4178ce, v70
	s_delay_alu instid0(VALU_DEP_3)
	v_dual_add_f32 v23, v21, v23 :: v_dual_add_f32 v2, v4, v2
	v_dual_add_f32 v0, v5, v0 :: v_dual_add_f32 v3, v7, v3
	v_fma_f32 v5, 0xbf27a4f4, v81, -v82
	v_fmamk_f32 v7, v10, 0xbf27a4f4, v83
	v_fma_f32 v4, 0xbf27a4f4, v10, -v83
	v_fma_f32 v17, 0xbf75a155, v33, -v17
	v_fmac_f32_e32 v8, 0xbe11bafb, v26
	v_add_f32_e32 v0, v5, v0
	v_dual_mul_f32 v84, 0xbe903f40, v66 :: v_dual_add_f32 v3, v7, v3
	v_dual_fmamk_f32 v7, v15, 0x3ed4b147, v85 :: v_dual_add_f32 v4, v4, v2
	v_fmac_f32_e32 v73, 0x3ed4b147, v72
	s_delay_alu instid0(VALU_DEP_3) | instskip(SKIP_1) | instid1(VALU_DEP_4)
	v_fma_f32 v5, 0xbf75a155, v26, -v84
	v_mul_f32_e32 v86, 0x3f0a6770, v67
	v_dual_fmac_f32 v84, 0xbf75a155, v26 :: v_dual_add_f32 v3, v7, v3
	v_mul_f32_e32 v93, 0xbf0a6770, v70
	s_delay_alu instid0(VALU_DEP_4) | instskip(NEXT) | instid1(VALU_DEP_4)
	v_add_f32_e32 v5, v20, v5
	v_fma_f32 v88, 0x3f575c64, v68, -v86
	s_delay_alu instid0(VALU_DEP_4) | instskip(SKIP_2) | instid1(VALU_DEP_4)
	v_add_f32_e32 v83, v20, v84
	v_fma_f32 v84, 0x3ed4b147, v15, -v85
	v_fmamk_f32 v7, v71, 0xbe11bafb, v87
	v_dual_fmac_f32 v86, 0x3f575c64, v68 :: v_dual_add_f32 v5, v88, v5
	v_fma_f32 v88, 0xbf27a4f4, v72, -v89
	s_delay_alu instid0(VALU_DEP_4) | instskip(SKIP_2) | instid1(VALU_DEP_4)
	v_add_f32_e32 v4, v84, v4
	v_mul_f32_e32 v84, 0xbe11bafb, v33
	v_add_f32_e32 v8, v20, v8
	v_dual_mul_f32 v96, 0x3e903f40, v70 :: v_dual_add_f32 v5, v88, v5
	v_dual_mul_f32 v88, 0xbf7d64f0, v80 :: v_dual_add_f32 v3, v7, v3
	v_fma_f32 v7, 0x3ed4b147, v78, -v90
	v_fmac_f32_e32 v90, 0x3ed4b147, v78
	v_fmac_f32_e32 v11, 0xbf75a155, v68
	;; [unrolled: 1-line block ×3, first 2 shown]
	v_fma_f32 v9, 0x3ed4b147, v10, -v9
	v_add_f32_e32 v5, v7, v5
	v_fma_f32 v7, 0xbe11bafb, v81, -v88
	v_fmac_f32_e32 v88, 0xbe11bafb, v81
	v_dual_mul_f32 v97, 0x3f575c64, v71 :: v_dual_add_f32 v8, v11, v8
	v_mul_f32_e32 v94, 0xbe903f40, v74
	s_delay_alu instid0(VALU_DEP_4) | instskip(SKIP_4) | instid1(VALU_DEP_4)
	v_dual_add_f32 v2, v7, v5 :: v_dual_add_f32 v5, v86, v83
	v_fmac_f32_e32 v89, 0xbf27a4f4, v72
	v_mul_f32_e32 v85, 0xbf27a4f4, v32
	v_fma_f32 v7, 0xbe11bafb, v71, -v87
	v_dual_mul_f32 v87, 0xbf4178ce, v66 :: v_dual_add_f32 v8, v73, v8
	v_dual_add_f32 v86, v89, v5 :: v_dual_mul_f32 v73, 0xbf75a155, v10
	s_delay_alu instid0(VALU_DEP_3) | instskip(NEXT) | instid1(VALU_DEP_3)
	v_add_f32_e32 v5, v7, v4
	v_dual_fmamk_f32 v7, v12, 0xbf7d64f0, v84 :: v_dual_add_f32 v8, v79, v8
	s_delay_alu instid0(VALU_DEP_3)
	v_dual_add_f32 v86, v90, v86 :: v_dual_fmamk_f32 v83, v13, 0x3f4178ce, v85
	v_mul_f32_e32 v90, 0xbf75a155, v15
	v_mul_f32_e32 v79, 0xbf68dda4, v66
	v_fmac_f32_e32 v85, 0xbf4178ce, v13
	v_fmac_f32_e32 v82, 0xbf27a4f4, v81
	v_dual_add_f32 v4, v21, v83 :: v_dual_mul_f32 v83, 0x3f575c64, v10
	v_mul_f32_e32 v66, 0xbf0a6770, v66
	v_fmamk_f32 v98, v28, 0xbf0a6770, v97
	s_delay_alu instid0(VALU_DEP_4) | instskip(NEXT) | instid1(VALU_DEP_4)
	v_add_f32_e32 v8, v82, v8
	v_dual_add_f32 v7, v7, v4 :: v_dual_add_f32 v4, v88, v86
	v_fmamk_f32 v86, v26, 0xbf27a4f4, v87
	v_mul_f32_e32 v88, 0x3f7d64f0, v67
	v_mul_f32_e32 v91, 0x3ed4b147, v71
	;; [unrolled: 1-line block ×4, first 2 shown]
	v_add_f32_e32 v86, v20, v86
	v_fmamk_f32 v92, v68, 0xbe11bafb, v88
	v_fmac_f32_e32 v84, 0x3f7d64f0, v12
	s_delay_alu instid0(VALU_DEP_2) | instskip(SKIP_2) | instid1(VALU_DEP_2)
	v_add_f32_e32 v86, v92, v86
	v_fmamk_f32 v92, v72, 0x3f575c64, v93
	v_fmamk_f32 v89, v65, 0x3f0a6770, v83
	v_dual_fmac_f32 v83, 0xbf0a6770, v65 :: v_dual_add_f32 v86, v92, v86
	s_delay_alu instid0(VALU_DEP_2) | instskip(SKIP_2) | instid1(VALU_DEP_2)
	v_add_f32_e32 v7, v89, v7
	v_fmamk_f32 v89, v24, 0x3e903f40, v90
	v_dual_mul_f32 v92, 0x3f68dda4, v80 :: v_dual_add_f32 v17, v17, v23
	v_dual_fmac_f32 v90, 0xbe903f40, v24 :: v_dual_add_f32 v7, v89, v7
	v_fmamk_f32 v89, v28, 0xbf68dda4, v91
	s_delay_alu instid0(VALU_DEP_3) | instskip(SKIP_2) | instid1(VALU_DEP_4)
	v_add_f32_e32 v9, v9, v17
	v_fma_f32 v17, 0x3f575c64, v15, -v6
	v_fmac_f32_e32 v91, 0x3f68dda4, v28
	v_add_f32_e32 v7, v89, v7
	v_fmamk_f32 v89, v78, 0xbf75a155, v94
	s_delay_alu instid0(VALU_DEP_1) | instskip(SKIP_2) | instid1(VALU_DEP_2)
	v_add_f32_e32 v23, v89, v86
	v_dual_fmamk_f32 v86, v81, 0x3ed4b147, v92 :: v_dual_mul_f32 v89, 0x3ed4b147, v32
	v_mul_f32_e32 v32, 0x3f575c64, v32
	v_dual_add_f32 v6, v86, v23 :: v_dual_fmamk_f32 v11, v13, 0x3f68dda4, v89
	v_mul_f32_e32 v23, 0xbf27a4f4, v33
	v_fmamk_f32 v86, v26, 0x3ed4b147, v79
	s_delay_alu instid0(VALU_DEP_4)
	v_fmamk_f32 v99, v13, 0x3f0a6770, v32
	v_mul_f32_e32 v33, 0x3ed4b147, v33
	v_add_f32_e32 v11, v21, v11
	v_add_f32_e32 v9, v17, v9
	v_fma_f32 v17, 0xbf27a4f4, v71, -v69
	v_add_f32_e32 v82, v20, v86
	v_dual_fmamk_f32 v86, v68, 0xbf27a4f4, v95 :: v_dual_add_f32 v99, v21, v99
	v_fmamk_f32 v101, v12, 0x3f68dda4, v33
	v_fmamk_f32 v69, v12, 0x3f4178ce, v23
	v_add_f32_e32 v9, v17, v9
	v_fmamk_f32 v17, v65, 0xbe903f40, v73
	v_fmac_f32_e32 v89, 0xbf68dda4, v13
	v_fmac_f32_e32 v23, 0xbf4178ce, v12
	v_add_f32_e32 v11, v69, v11
	v_mul_f32_e32 v69, 0xbe11bafb, v15
	v_fmac_f32_e32 v32, 0xbf0a6770, v13
	v_fma_f32 v13, 0x3f575c64, v26, -v66
	s_delay_alu instid0(VALU_DEP_4) | instskip(NEXT) | instid1(VALU_DEP_4)
	v_add_f32_e32 v11, v17, v11
	v_fmamk_f32 v17, v24, 0xbf7d64f0, v69
	s_delay_alu instid0(VALU_DEP_1) | instskip(SKIP_1) | instid1(VALU_DEP_1)
	v_add_f32_e32 v11, v17, v11
	v_dual_add_f32 v17, v86, v82 :: v_dual_fmamk_f32 v82, v72, 0xbf75a155, v96
	v_dual_mul_f32 v86, 0x3f7d64f0, v74 :: v_dual_add_f32 v17, v82, v17
	s_delay_alu instid0(VALU_DEP_1) | instskip(NEXT) | instid1(VALU_DEP_1)
	v_fmamk_f32 v82, v78, 0xbe11bafb, v86
	v_dual_fmac_f32 v69, 0x3f7d64f0, v24 :: v_dual_add_f32 v10, v82, v17
	v_add_f32_e32 v17, v19, v21
	s_delay_alu instid0(VALU_DEP_1) | instskip(NEXT) | instid1(VALU_DEP_1)
	v_add_f32_e32 v14, v14, v17
	v_add_f32_e32 v14, v35, v14
	s_delay_alu instid0(VALU_DEP_1) | instskip(SKIP_1) | instid1(VALU_DEP_2)
	v_add_f32_e32 v14, v25, v14
	v_mul_f32_e32 v25, 0xbf7d64f0, v70
	v_dual_add_f32 v11, v98, v11 :: v_dual_add_f32 v14, v27, v14
	v_mul_f32_e32 v27, 0xbf4178ce, v74
	s_delay_alu instid0(VALU_DEP_2)
	v_dual_fmac_f32 v97, 0x3f0a6770, v28 :: v_dual_add_f32 v14, v29, v14
	v_add_f32_e32 v82, v101, v99
	v_fmamk_f32 v99, v65, 0x3f7d64f0, v102
	v_mul_f32_e32 v29, 0xbf75a155, v71
	v_fmac_f32_e32 v102, 0xbf7d64f0, v65
	v_dual_add_f32 v14, v30, v14 :: v_dual_mul_f32 v35, 0xbf68dda4, v67
	s_delay_alu instid0(VALU_DEP_4) | instskip(SKIP_1) | instid1(VALU_DEP_3)
	v_dual_add_f32 v17, v99, v82 :: v_dual_mul_f32 v82, 0xbf27a4f4, v15
	v_dual_add_f32 v15, v20, v62 :: v_dual_mul_f32 v30, 0xbe903f40, v80
	v_add_f32_e32 v14, v37, v14
	v_fmamk_f32 v19, v81, 0x3f575c64, v100
	s_delay_alu instid0(VALU_DEP_3) | instskip(SKIP_1) | instid1(VALU_DEP_4)
	v_dual_fmamk_f32 v62, v24, 0x3f4178ce, v82 :: v_dual_add_f32 v15, v22, v15
	v_fmamk_f32 v22, v68, 0x3ed4b147, v35
	v_add_f32_e32 v16, v16, v14
	s_delay_alu instid0(VALU_DEP_4) | instskip(SKIP_2) | instid1(VALU_DEP_3)
	v_dual_add_f32 v10, v19, v10 :: v_dual_fmamk_f32 v19, v26, 0x3f575c64, v66
	v_dual_fmac_f32 v33, 0xbf68dda4, v12 :: v_dual_add_f32 v12, v20, v13
	v_fma_f32 v13, 0x3ed4b147, v68, -v35
	v_dual_fmac_f32 v82, 0xbf4178ce, v24 :: v_dual_add_f32 v19, v20, v19
	s_delay_alu instid0(VALU_DEP_1) | instskip(SKIP_1) | instid1(VALU_DEP_1)
	v_dual_add_f32 v12, v13, v12 :: v_dual_add_f32 v19, v22, v19
	v_fmamk_f32 v22, v72, 0xbe11bafb, v25
	v_add_f32_e32 v19, v22, v19
	v_fmamk_f32 v22, v78, 0xbf27a4f4, v27
	v_add_f32_e32 v17, v62, v17
	s_delay_alu instid0(VALU_DEP_2) | instskip(SKIP_1) | instid1(VALU_DEP_2)
	v_dual_add_f32 v19, v22, v19 :: v_dual_fmamk_f32 v22, v81, 0xbf75a155, v30
	v_add_f32_e32 v15, v38, v15
	v_add_f32_e32 v14, v22, v19
	s_delay_alu instid0(VALU_DEP_2) | instskip(SKIP_2) | instid1(VALU_DEP_3)
	v_add_f32_e32 v15, v34, v15
	v_fma_f32 v19, 0xbf27a4f4, v26, -v87
	v_fma_f32 v22, 0xbe11bafb, v68, -v88
	v_add_f32_e32 v15, v31, v15
	v_fmamk_f32 v31, v28, 0x3e903f40, v29
	s_delay_alu instid0(VALU_DEP_4) | instskip(NEXT) | instid1(VALU_DEP_2)
	v_add_f32_e32 v19, v20, v19
	v_dual_add_f32 v34, v64, v15 :: v_dual_add_f32 v15, v31, v17
	s_delay_alu instid0(VALU_DEP_2) | instskip(SKIP_1) | instid1(VALU_DEP_3)
	v_add_f32_e32 v19, v22, v19
	v_dual_add_f32 v17, v18, v16 :: v_dual_add_f32 v18, v21, v85
	v_add_f32_e32 v31, v36, v34
	v_fma_f32 v22, 0x3f575c64, v72, -v93
	s_delay_alu instid0(VALU_DEP_3) | instskip(NEXT) | instid1(VALU_DEP_3)
	v_dual_fmac_f32 v73, 0x3e903f40, v65 :: v_dual_add_f32 v18, v84, v18
	v_add_f32_e32 v16, v39, v31
	s_delay_alu instid0(VALU_DEP_2) | instskip(NEXT) | instid1(VALU_DEP_2)
	v_add_f32_e32 v18, v83, v18
	v_add_f32_e32 v16, v63, v16
	v_fma_f32 v13, 0xbe11bafb, v72, -v25
	v_fma_f32 v25, 0xbf75a155, v81, -v30
	s_delay_alu instid0(VALU_DEP_4) | instskip(NEXT) | instid1(VALU_DEP_4)
	v_add_f32_e32 v18, v90, v18
	v_add_f32_e32 v16, v61, v16
	s_delay_alu instid0(VALU_DEP_4) | instskip(SKIP_3) | instid1(VALU_DEP_3)
	v_dual_add_f32 v12, v13, v12 :: v_dual_add_f32 v19, v22, v19
	v_fma_f32 v22, 0xbf75a155, v78, -v94
	v_add_f32_e32 v31, v21, v89
	v_add_f32_e32 v21, v21, v32
	v_dual_fmac_f32 v29, 0xbe903f40, v28 :: v_dual_add_f32 v22, v22, v19
	v_fma_f32 v13, 0xbf27a4f4, v78, -v27
	v_add_f32_e32 v19, v91, v18
	s_delay_alu instid0(VALU_DEP_4) | instskip(NEXT) | instid1(VALU_DEP_3)
	v_add_f32_e32 v21, v33, v21
	v_dual_add_f32 v24, v13, v12 :: v_dual_add_f32 v23, v23, v31
	v_fma_f32 v31, 0x3ed4b147, v81, -v92
	s_delay_alu instid0(VALU_DEP_1) | instskip(SKIP_2) | instid1(VALU_DEP_2)
	v_dual_add_f32 v21, v102, v21 :: v_dual_add_f32 v18, v31, v22
	v_fma_f32 v22, 0x3ed4b147, v26, -v79
	v_fma_f32 v26, 0xbf27a4f4, v68, -v95
	v_dual_add_f32 v21, v82, v21 :: v_dual_add_f32 v22, v20, v22
	s_delay_alu instid0(VALU_DEP_1) | instskip(SKIP_1) | instid1(VALU_DEP_1)
	v_dual_add_f32 v21, v29, v21 :: v_dual_add_f32 v20, v26, v22
	v_fma_f32 v22, 0xbf75a155, v72, -v96
	v_add_f32_e32 v20, v22, v20
	v_fma_f32 v22, 0xbe11bafb, v78, -v86
	s_delay_alu instid0(VALU_DEP_1) | instskip(SKIP_1) | instid1(VALU_DEP_1)
	v_add_f32_e32 v20, v22, v20
	v_fma_f32 v22, 0x3f575c64, v81, -v100
	v_add_f32_e32 v12, v22, v20
	v_add_f32_e32 v20, v25, v24
	;; [unrolled: 1-line block ×3, first 2 shown]
	s_delay_alu instid0(VALU_DEP_1) | instskip(NEXT) | instid1(VALU_DEP_1)
	v_add_f32_e32 v23, v69, v23
	v_add_f32_e32 v13, v97, v23
	v_lshl_add_u32 v23, v75, 3, v77
	ds_store_b64 v76, v[16:17]
	ds_store_2addr_b64 v23, v[14:15], v[10:11] offset0:20 offset1:40
	ds_store_2addr_b64 v23, v[8:9], v[6:7] offset0:60 offset1:80
	;; [unrolled: 1-line block ×5, first 2 shown]
.LBB0_9:
	s_wait_alu 0xfffe
	s_or_b32 exec_lo, exec_lo, s0
	global_wb scope:SCOPE_SE
	s_wait_dscnt 0x0
	s_barrier_signal -1
	s_barrier_wait -1
	global_inv scope:SCOPE_SE
	ds_load_2addr_b64 v[0:3], v76 offset1:22
	ds_load_2addr_b64 v[4:7], v76 offset0:44 offset1:66
	ds_load_2addr_b64 v[8:11], v76 offset0:88 offset1:110
	;; [unrolled: 1-line block ×3, first 2 shown]
	s_mov_b32 s0, 0x29e4129e
	s_mov_b32 s1, 0x3f729e41
	v_mad_co_u64_u32 v[16:17], null, s6, v40, 0
	s_wait_dscnt 0x3
	v_dual_mul_f32 v18, v46, v1 :: v_dual_mul_f32 v21, v48, v2
	v_dual_mul_f32 v19, v46, v0 :: v_dual_mul_f32 v20, v48, v3
	s_wait_dscnt 0x2
	v_dual_mul_f32 v24, v52, v5 :: v_dual_mul_f32 v29, v54, v6
	v_mul_f32_e32 v22, v52, v4
	v_fmac_f32_e32 v18, v45, v0
	v_fma_f32 v0, v45, v1, -v19
	s_wait_dscnt 0x0
	v_dual_fmac_f32 v20, v47, v2 :: v_dual_mul_f32 v35, v50, v12
	v_fmac_f32_e32 v24, v51, v4
	v_fma_f32 v2, v51, v5, -v22
	v_cvt_f64_f32_e32 v[4:5], v18
	v_cvt_f64_f32_e32 v[18:19], v0
	v_fma_f32 v1, v47, v3, -v21
	v_mul_f32_e32 v0, v60, v8
	v_cvt_f64_f32_e32 v[26:27], v2
	v_dual_mul_f32 v28, v54, v7 :: v_dual_mul_f32 v33, v44, v10
	s_delay_alu instid0(VALU_DEP_4) | instskip(NEXT) | instid1(VALU_DEP_4)
	v_cvt_f64_f32_e32 v[22:23], v1
	v_fma_f32 v31, v59, v9, -v0
	ds_load_2addr_b64 v[0:3], v76 offset0:176 offset1:198
	v_mul_f32_e32 v32, v44, v11
	v_mul_f32_e32 v36, v42, v15
	v_fma_f32 v33, v43, v11, -v33
	v_cvt_f64_f32_e32 v[20:21], v20
	v_mul_f32_e32 v30, v60, v9
	v_fmac_f32_e32 v32, v43, v10
	v_fmac_f32_e32 v36, v41, v14
	v_mul_f32_e32 v14, v42, v14
	v_fmac_f32_e32 v28, v53, v6
	v_fma_f32 v29, v53, v7, -v29
	v_mul_f32_e32 v34, v50, v13
	v_fmac_f32_e32 v30, v59, v8
	v_fma_f32 v14, v41, v15, -v14
	v_fma_f32 v35, v49, v13, -v35
	v_cvt_f64_f32_e32 v[8:9], v29
	v_fmac_f32_e32 v34, v49, v12
	v_cvt_f64_f32_e32 v[10:11], v32
	v_cvt_f64_f32_e32 v[12:13], v33
	v_cvt_f64_f32_e32 v[36:37], v36
	s_wait_dscnt 0x0
	v_mul_f32_e32 v39, v56, v0
	v_mul_f32_e32 v43, v58, v2
	v_cvt_f64_f32_e32 v[6:7], v28
	v_mul_f32_e32 v38, v56, v1
	v_mul_f32_e32 v42, v58, v3
	v_fma_f32 v15, v55, v1, -v39
	v_fma_f32 v41, v57, v3, -v43
	v_mad_co_u64_u32 v[43:44], null, s4, v75, 0
	v_fmac_f32_e32 v38, v55, v0
	s_wait_alu 0xfffe
	v_mul_f64_e32 v[18:19], s[0:1], v[18:19]
	v_fmac_f32_e32 v42, v57, v2
	v_cvt_f64_f32_e32 v[28:29], v30
	v_cvt_f64_f32_e32 v[30:31], v31
	;; [unrolled: 1-line block ×9, first 2 shown]
	v_mul_f64_e32 v[4:5], s[0:1], v[4:5]
	v_mul_f64_e32 v[20:21], s[0:1], v[20:21]
	;; [unrolled: 1-line block ×9, first 2 shown]
	v_mad_co_u64_u32 v[45:46], null, s7, v40, v[17:18]
	v_mov_b32_e32 v17, v44
	v_mul_f64_e32 v[28:29], s[0:1], v[28:29]
	v_mul_f64_e32 v[30:31], s[0:1], v[30:31]
	v_mul_f64_e32 v[32:33], s[0:1], v[32:33]
	v_mul_f64_e32 v[34:35], s[0:1], v[34:35]
	v_mad_co_u64_u32 v[46:47], null, s5, v75, v[17:18]
	v_mov_b32_e32 v17, v45
	v_cvt_f64_f32_e32 v[24:25], v24
	v_mul_f64_e32 v[0:1], s[0:1], v[0:1]
	v_mul_f64_e32 v[2:3], s[0:1], v[2:3]
	;; [unrolled: 1-line block ×5, first 2 shown]
	v_cvt_f32_f64_e32 v4, v[4:5]
	v_cvt_f32_f64_e32 v5, v[18:19]
	v_mov_b32_e32 v44, v46
	v_lshlrev_b64_e32 v[16:17], 3, v[16:17]
	v_cvt_f32_f64_e32 v18, v[20:21]
	v_cvt_f32_f64_e32 v19, v[22:23]
	;; [unrolled: 1-line block ×3, first 2 shown]
	v_lshlrev_b64_e32 v[42:43], 3, v[43:44]
	v_add_co_u32 v16, vcc_lo, s2, v16
	s_wait_alu 0xfffd
	v_add_co_ci_u32_e32 v17, vcc_lo, s3, v17, vcc_lo
	v_cvt_f32_f64_e32 v10, v[10:11]
	s_delay_alu instid0(VALU_DEP_3) | instskip(SKIP_1) | instid1(VALU_DEP_3)
	v_add_co_u32 v16, vcc_lo, v16, v42
	s_wait_alu 0xfffd
	v_add_co_ci_u32_e32 v17, vcc_lo, v17, v43, vcc_lo
	v_cvt_f32_f64_e32 v6, v[6:7]
	v_cvt_f32_f64_e32 v7, v[8:9]
	;; [unrolled: 1-line block ×6, first 2 shown]
	v_mul_f64_e32 v[24:25], s[0:1], v[24:25]
	s_mul_u64 s[0:1], s[4:5], 0xb0
	v_cvt_f32_f64_e32 v27, v[0:1]
	s_wait_alu 0xfffe
	v_add_co_u32 v20, vcc_lo, v16, s0
	s_wait_alu 0xfffd
	v_add_co_ci_u32_e32 v21, vcc_lo, s1, v17, vcc_lo
	v_cvt_f32_f64_e32 v0, v[2:3]
	s_delay_alu instid0(VALU_DEP_3) | instskip(SKIP_1) | instid1(VALU_DEP_3)
	v_add_co_u32 v8, vcc_lo, v20, s0
	s_wait_alu 0xfffd
	v_add_co_ci_u32_e32 v9, vcc_lo, s1, v21, vcc_lo
	v_cvt_f32_f64_e32 v1, v[14:15]
	v_cvt_f32_f64_e32 v2, v[38:39]
	;; [unrolled: 1-line block ×3, first 2 shown]
	v_add_co_u32 v14, vcc_lo, v8, s0
	s_wait_alu 0xfffd
	v_add_co_ci_u32_e32 v15, vcc_lo, s1, v9, vcc_lo
	s_clause 0x1
	global_store_b64 v[16:17], v[4:5], off
	global_store_b64 v[20:21], v[18:19], off
	v_cvt_f32_f64_e32 v22, v[24:25]
	v_cvt_f32_f64_e32 v24, v[28:29]
	;; [unrolled: 1-line block ×3, first 2 shown]
	v_add_co_u32 v28, vcc_lo, v14, s0
	s_wait_alu 0xfffd
	v_add_co_ci_u32_e32 v29, vcc_lo, s1, v15, vcc_lo
	s_delay_alu instid0(VALU_DEP_2) | instskip(SKIP_1) | instid1(VALU_DEP_2)
	v_add_co_u32 v4, vcc_lo, v28, s0
	s_wait_alu 0xfffd
	v_add_co_ci_u32_e32 v5, vcc_lo, s1, v29, vcc_lo
	s_delay_alu instid0(VALU_DEP_2) | instskip(SKIP_1) | instid1(VALU_DEP_2)
	v_add_co_u32 v16, vcc_lo, v4, s0
	s_wait_alu 0xfffd
	v_add_co_ci_u32_e32 v17, vcc_lo, s1, v5, vcc_lo
	global_store_b64 v[8:9], v[22:23], off
	v_add_co_u32 v8, vcc_lo, v16, s0
	s_wait_alu 0xfffd
	v_add_co_ci_u32_e32 v9, vcc_lo, s1, v17, vcc_lo
	global_store_b64 v[14:15], v[6:7], off
	;; [unrolled: 4-line block ×4, first 2 shown]
	global_store_b64 v[16:17], v[12:13], off
	global_store_b64 v[8:9], v[26:27], off
	;; [unrolled: 1-line block ×4, first 2 shown]
.LBB0_10:
	s_nop 0
	s_sendmsg sendmsg(MSG_DEALLOC_VGPRS)
	s_endpgm
	.section	.rodata,"a",@progbits
	.p2align	6, 0x0
	.amdhsa_kernel bluestein_single_back_len220_dim1_sp_op_CI_CI
		.amdhsa_group_segment_fixed_size 8800
		.amdhsa_private_segment_fixed_size 0
		.amdhsa_kernarg_size 104
		.amdhsa_user_sgpr_count 2
		.amdhsa_user_sgpr_dispatch_ptr 0
		.amdhsa_user_sgpr_queue_ptr 0
		.amdhsa_user_sgpr_kernarg_segment_ptr 1
		.amdhsa_user_sgpr_dispatch_id 0
		.amdhsa_user_sgpr_private_segment_size 0
		.amdhsa_wavefront_size32 1
		.amdhsa_uses_dynamic_stack 0
		.amdhsa_enable_private_segment 0
		.amdhsa_system_sgpr_workgroup_id_x 1
		.amdhsa_system_sgpr_workgroup_id_y 0
		.amdhsa_system_sgpr_workgroup_id_z 0
		.amdhsa_system_sgpr_workgroup_info 0
		.amdhsa_system_vgpr_workitem_id 0
		.amdhsa_next_free_vgpr 157
		.amdhsa_next_free_sgpr 20
		.amdhsa_reserve_vcc 1
		.amdhsa_float_round_mode_32 0
		.amdhsa_float_round_mode_16_64 0
		.amdhsa_float_denorm_mode_32 3
		.amdhsa_float_denorm_mode_16_64 3
		.amdhsa_fp16_overflow 0
		.amdhsa_workgroup_processor_mode 1
		.amdhsa_memory_ordered 1
		.amdhsa_forward_progress 0
		.amdhsa_round_robin_scheduling 0
		.amdhsa_exception_fp_ieee_invalid_op 0
		.amdhsa_exception_fp_denorm_src 0
		.amdhsa_exception_fp_ieee_div_zero 0
		.amdhsa_exception_fp_ieee_overflow 0
		.amdhsa_exception_fp_ieee_underflow 0
		.amdhsa_exception_fp_ieee_inexact 0
		.amdhsa_exception_int_div_zero 0
	.end_amdhsa_kernel
	.text
.Lfunc_end0:
	.size	bluestein_single_back_len220_dim1_sp_op_CI_CI, .Lfunc_end0-bluestein_single_back_len220_dim1_sp_op_CI_CI
                                        ; -- End function
	.section	.AMDGPU.csdata,"",@progbits
; Kernel info:
; codeLenInByte = 10924
; NumSgprs: 22
; NumVgprs: 157
; ScratchSize: 0
; MemoryBound: 0
; FloatMode: 240
; IeeeMode: 1
; LDSByteSize: 8800 bytes/workgroup (compile time only)
; SGPRBlocks: 2
; VGPRBlocks: 19
; NumSGPRsForWavesPerEU: 22
; NumVGPRsForWavesPerEU: 157
; Occupancy: 9
; WaveLimiterHint : 1
; COMPUTE_PGM_RSRC2:SCRATCH_EN: 0
; COMPUTE_PGM_RSRC2:USER_SGPR: 2
; COMPUTE_PGM_RSRC2:TRAP_HANDLER: 0
; COMPUTE_PGM_RSRC2:TGID_X_EN: 1
; COMPUTE_PGM_RSRC2:TGID_Y_EN: 0
; COMPUTE_PGM_RSRC2:TGID_Z_EN: 0
; COMPUTE_PGM_RSRC2:TIDIG_COMP_CNT: 0
	.text
	.p2alignl 7, 3214868480
	.fill 96, 4, 3214868480
	.type	__hip_cuid_42d85723d1b6966f,@object ; @__hip_cuid_42d85723d1b6966f
	.section	.bss,"aw",@nobits
	.globl	__hip_cuid_42d85723d1b6966f
__hip_cuid_42d85723d1b6966f:
	.byte	0                               ; 0x0
	.size	__hip_cuid_42d85723d1b6966f, 1

	.ident	"AMD clang version 19.0.0git (https://github.com/RadeonOpenCompute/llvm-project roc-6.4.0 25133 c7fe45cf4b819c5991fe208aaa96edf142730f1d)"
	.section	".note.GNU-stack","",@progbits
	.addrsig
	.addrsig_sym __hip_cuid_42d85723d1b6966f
	.amdgpu_metadata
---
amdhsa.kernels:
  - .args:
      - .actual_access:  read_only
        .address_space:  global
        .offset:         0
        .size:           8
        .value_kind:     global_buffer
      - .actual_access:  read_only
        .address_space:  global
        .offset:         8
        .size:           8
        .value_kind:     global_buffer
      - .actual_access:  read_only
        .address_space:  global
        .offset:         16
        .size:           8
        .value_kind:     global_buffer
      - .actual_access:  read_only
        .address_space:  global
        .offset:         24
        .size:           8
        .value_kind:     global_buffer
      - .actual_access:  read_only
        .address_space:  global
        .offset:         32
        .size:           8
        .value_kind:     global_buffer
      - .offset:         40
        .size:           8
        .value_kind:     by_value
      - .address_space:  global
        .offset:         48
        .size:           8
        .value_kind:     global_buffer
      - .address_space:  global
        .offset:         56
        .size:           8
        .value_kind:     global_buffer
      - .address_space:  global
        .offset:         64
        .size:           8
        .value_kind:     global_buffer
      - .address_space:  global
        .offset:         72
        .size:           8
        .value_kind:     global_buffer
      - .offset:         80
        .size:           4
        .value_kind:     by_value
      - .address_space:  global
        .offset:         88
        .size:           8
        .value_kind:     global_buffer
      - .address_space:  global
        .offset:         96
        .size:           8
        .value_kind:     global_buffer
    .group_segment_fixed_size: 8800
    .kernarg_segment_align: 8
    .kernarg_segment_size: 104
    .language:       OpenCL C
    .language_version:
      - 2
      - 0
    .max_flat_workgroup_size: 110
    .name:           bluestein_single_back_len220_dim1_sp_op_CI_CI
    .private_segment_fixed_size: 0
    .sgpr_count:     22
    .sgpr_spill_count: 0
    .symbol:         bluestein_single_back_len220_dim1_sp_op_CI_CI.kd
    .uniform_work_group_size: 1
    .uses_dynamic_stack: false
    .vgpr_count:     157
    .vgpr_spill_count: 0
    .wavefront_size: 32
    .workgroup_processor_mode: 1
amdhsa.target:   amdgcn-amd-amdhsa--gfx1201
amdhsa.version:
  - 1
  - 2
...

	.end_amdgpu_metadata
